;; amdgpu-corpus repo=ROCm/rocFFT kind=compiled arch=gfx906 opt=O3
	.text
	.amdgcn_target "amdgcn-amd-amdhsa--gfx906"
	.amdhsa_code_object_version 6
	.protected	bluestein_single_fwd_len1584_dim1_sp_op_CI_CI ; -- Begin function bluestein_single_fwd_len1584_dim1_sp_op_CI_CI
	.globl	bluestein_single_fwd_len1584_dim1_sp_op_CI_CI
	.p2align	8
	.type	bluestein_single_fwd_len1584_dim1_sp_op_CI_CI,@function
bluestein_single_fwd_len1584_dim1_sp_op_CI_CI: ; @bluestein_single_fwd_len1584_dim1_sp_op_CI_CI
; %bb.0:
	s_load_dwordx4 s[8:11], s[4:5], 0x28
	v_mul_u32_u24_e32 v1, 0x175, v0
	v_add_u32_sdwa v70, s6, v1 dst_sel:DWORD dst_unused:UNUSED_PAD src0_sel:DWORD src1_sel:WORD_1
	v_mov_b32_e32 v71, 0
	s_waitcnt lgkmcnt(0)
	v_cmp_gt_u64_e32 vcc, s[8:9], v[70:71]
	s_and_saveexec_b64 s[0:1], vcc
	s_cbranch_execz .LBB0_39
; %bb.1:
	s_load_dwordx4 s[0:3], s[4:5], 0x18
	s_load_dwordx2 s[16:17], s[4:5], 0x0
	s_waitcnt lgkmcnt(0)
	s_load_dwordx4 s[12:15], s[0:1], 0x0
	s_movk_i32 s0, 0xb0
	v_mul_lo_u16_sdwa v1, v1, s0 dst_sel:DWORD dst_unused:UNUSED_PAD src0_sel:WORD_1 src1_sel:DWORD
	v_sub_u16_e32 v88, v0, v1
	v_lshlrev_b32_e32 v87, 3, v88
	s_waitcnt lgkmcnt(0)
	v_mad_u64_u32 v[0:1], s[0:1], s14, v70, 0
	v_mad_u64_u32 v[2:3], s[0:1], s12, v88, 0
	v_add_co_u32_e64 v62, s[8:9], s16, v87
	v_mad_u64_u32 v[4:5], s[0:1], s15, v70, v[1:2]
	global_load_dwordx2 v[79:80], v87, s[16:17]
	global_load_dwordx2 v[77:78], v87, s[16:17] offset:3168
	v_mad_u64_u32 v[5:6], s[0:1], s13, v88, v[3:4]
	v_mov_b32_e32 v1, v4
	v_lshlrev_b64 v[0:1], 3, v[0:1]
	v_mov_b32_e32 v6, s11
	v_mov_b32_e32 v3, v5
	v_add_co_u32_e32 v4, vcc, s10, v0
	v_addc_co_u32_e32 v5, vcc, v6, v1, vcc
	v_lshlrev_b64 v[0:1], 3, v[2:3]
	s_mul_i32 s0, s13, 0x18c
	s_mul_hi_u32 s1, s12, 0x18c
	v_add_co_u32_e32 v0, vcc, v4, v0
	v_mov_b32_e32 v2, s17
	s_add_i32 s1, s1, s0
	s_mul_i32 s0, s12, 0x18c
	v_addc_co_u32_e32 v1, vcc, v5, v1, vcc
	v_addc_co_u32_e64 v63, vcc, 0, v2, s[8:9]
	s_lshl_b64 s[6:7], s[0:1], 3
	v_mov_b32_e32 v20, s7
	v_add_co_u32_e32 v2, vcc, s6, v0
	v_addc_co_u32_e32 v3, vcc, v1, v20, vcc
	v_add_co_u32_e32 v4, vcc, s6, v2
	v_addc_co_u32_e32 v5, vcc, v3, v20, vcc
	s_movk_i32 s0, 0x1000
	global_load_dwordx2 v[6:7], v[0:1], off
	global_load_dwordx2 v[8:9], v[2:3], off
	;; [unrolled: 1-line block ×3, first 2 shown]
	v_add_co_u32_e32 v0, vcc, s0, v62
	v_addc_co_u32_e32 v1, vcc, 0, v63, vcc
	v_add_co_u32_e32 v4, vcc, s6, v4
	v_addc_co_u32_e32 v5, vcc, v5, v20, vcc
	s_movk_i32 s0, 0x2000
	s_mul_hi_u32 s1, s12, 0xfffffc0c
	v_add_co_u32_e32 v2, vcc, s0, v62
	s_mul_i32 s0, s13, 0xfffffc0c
	s_sub_i32 s1, s1, s12
	global_load_dwordx2 v[75:76], v[0:1], off offset:2240
	s_add_i32 s1, s1, s0
	s_mul_i32 s0, s12, 0xfffffc0c
	v_addc_co_u32_e32 v3, vcc, 0, v63, vcc
	global_load_dwordx2 v[71:72], v[2:3], off offset:1312
	s_lshl_b64 s[18:19], s[0:1], 3
	global_load_dwordx2 v[12:13], v[4:5], off
	v_mov_b32_e32 v14, s19
	v_add_co_u32_e32 v4, vcc, s18, v4
	v_addc_co_u32_e32 v5, vcc, v5, v14, vcc
	global_load_dwordx2 v[14:15], v[4:5], off
	global_load_dwordx2 v[73:74], v87, s[16:17] offset:1408
	v_add_co_u32_e32 v4, vcc, s6, v4
	v_addc_co_u32_e32 v5, vcc, v5, v20, vcc
	global_load_dwordx2 v[16:17], v[4:5], off
	global_load_dwordx2 v[66:67], v[0:1], off offset:3648
	global_load_dwordx2 v[68:69], v[0:1], off offset:480
	v_add_co_u32_e32 v4, vcc, s6, v4
	v_addc_co_u32_e32 v5, vcc, v5, v20, vcc
	global_load_dwordx2 v[18:19], v[4:5], off
	v_add_co_u32_e32 v4, vcc, s6, v4
	v_addc_co_u32_e32 v5, vcc, v5, v20, vcc
	global_load_dwordx2 v[64:65], v[2:3], off offset:2720
	global_load_dwordx2 v[20:21], v[4:5], off
	s_load_dwordx2 s[10:11], s[4:5], 0x38
	s_load_dwordx4 s[12:15], s[2:3], 0x0
	v_cmp_gt_u16_e64 s[0:1], 44, v88
	s_waitcnt vmcnt(13)
	v_mul_f32_e32 v22, v7, v80
	v_fmac_f32_e32 v22, v6, v79
	v_mul_f32_e32 v6, v6, v80
	v_fma_f32 v23, v7, v79, -v6
	s_waitcnt vmcnt(12)
	v_mul_f32_e32 v6, v9, v78
	v_mul_f32_e32 v7, v8, v78
	v_fmac_f32_e32 v6, v8, v77
	v_fma_f32 v7, v9, v77, -v7
	ds_write_b64 v87, v[6:7] offset:3168
	s_waitcnt vmcnt(10)
	v_mul_f32_e32 v6, v11, v76
	v_mul_f32_e32 v7, v10, v76
	v_fmac_f32_e32 v6, v10, v75
	v_fma_f32 v7, v11, v75, -v7
	ds_write_b64 v87, v[6:7] offset:6336
	;; [unrolled: 6-line block ×3, first 2 shown]
	s_waitcnt vmcnt(6)
	v_mul_f32_e32 v6, v15, v74
	v_mul_f32_e32 v7, v14, v74
	v_fmac_f32_e32 v6, v14, v73
	v_fma_f32 v7, v15, v73, -v7
	ds_write2_b64 v87, v[22:23], v[6:7] offset1:176
	s_waitcnt vmcnt(3)
	v_mul_f32_e32 v6, v17, v69
	v_mul_f32_e32 v7, v16, v69
	v_fmac_f32_e32 v6, v16, v68
	v_fma_f32 v7, v17, v68, -v7
	ds_write_b64 v87, v[6:7] offset:4576
	s_waitcnt vmcnt(2)
	v_mul_f32_e32 v6, v19, v67
	v_mul_f32_e32 v7, v18, v67
	v_fmac_f32_e32 v6, v18, v66
	v_fma_f32 v7, v19, v66, -v7
	ds_write_b64 v87, v[6:7] offset:7744
	;; [unrolled: 6-line block ×3, first 2 shown]
	s_and_saveexec_b64 s[2:3], s[0:1]
	s_cbranch_execz .LBB0_3
; %bb.2:
	v_mov_b32_e32 v6, s19
	v_add_co_u32_e32 v4, vcc, s18, v4
	v_addc_co_u32_e32 v5, vcc, v5, v6, vcc
	global_load_dwordx2 v[6:7], v[4:5], off
	v_mov_b32_e32 v18, s7
	v_add_co_u32_e32 v4, vcc, s6, v4
	v_addc_co_u32_e32 v5, vcc, v5, v18, vcc
	global_load_dwordx2 v[8:9], v[4:5], off
	v_add_co_u32_e32 v4, vcc, s6, v4
	v_addc_co_u32_e32 v5, vcc, v5, v18, vcc
	global_load_dwordx2 v[10:11], v[62:63], off offset:2816
	global_load_dwordx2 v[12:13], v[4:5], off
	global_load_dwordx2 v[14:15], v[0:1], off offset:1888
	global_load_dwordx2 v[16:17], v[2:3], off offset:960
	v_add_co_u32_e32 v0, vcc, s6, v4
	v_addc_co_u32_e32 v1, vcc, v5, v18, vcc
	v_add_co_u32_e32 v2, vcc, 0x3000, v62
	v_addc_co_u32_e32 v3, vcc, 0, v63, vcc
	global_load_dwordx2 v[4:5], v[2:3], off offset:32
	global_load_dwordx2 v[18:19], v[0:1], off
	s_waitcnt vmcnt(5)
	v_mul_f32_e32 v0, v7, v11
	v_mul_f32_e32 v1, v6, v11
	s_waitcnt vmcnt(3)
	v_mul_f32_e32 v2, v9, v15
	v_mul_f32_e32 v3, v8, v15
	v_fmac_f32_e32 v0, v6, v10
	v_fma_f32 v1, v7, v10, -v1
	v_fmac_f32_e32 v2, v8, v14
	v_fma_f32 v3, v9, v14, -v3
	ds_write_b64 v87, v[0:1] offset:2816
	s_waitcnt vmcnt(2)
	v_mul_f32_e32 v0, v13, v17
	v_mul_f32_e32 v1, v12, v17
	ds_write_b64 v87, v[2:3] offset:5984
	s_waitcnt vmcnt(0)
	v_mul_f32_e32 v2, v19, v5
	v_mul_f32_e32 v3, v18, v5
	v_fmac_f32_e32 v0, v12, v16
	v_fma_f32 v1, v13, v16, -v1
	v_fmac_f32_e32 v2, v18, v4
	v_fma_f32 v3, v19, v4, -v3
	ds_write_b64 v87, v[0:1] offset:9152
	ds_write_b64 v87, v[2:3] offset:12320
.LBB0_3:
	s_or_b64 exec, exec, s[2:3]
	v_add_u32_e32 v4, 0xc00, v87
	v_add_u32_e32 v8, 0x1800, v87
	;; [unrolled: 1-line block ×3, first 2 shown]
	s_waitcnt lgkmcnt(0)
	s_barrier
	ds_read2_b64 v[0:3], v87 offset1:176
	ds_read2_b64 v[4:7], v4 offset0:12 offset1:188
	ds_read2_b64 v[8:11], v8 offset0:24 offset1:200
	;; [unrolled: 1-line block ×3, first 2 shown]
                                        ; implicit-def: $vgpr20
                                        ; implicit-def: $vgpr22
                                        ; implicit-def: $vgpr16
                                        ; implicit-def: $vgpr18
	s_and_saveexec_b64 s[2:3], s[0:1]
	s_cbranch_execz .LBB0_5
; %bb.4:
	ds_read_b64 v[18:19], v87 offset:2816
	ds_read_b64 v[16:17], v87 offset:5984
	;; [unrolled: 1-line block ×4, first 2 shown]
.LBB0_5:
	s_or_b64 exec, exec, s[2:3]
	s_waitcnt lgkmcnt(1)
	v_sub_f32_e32 v8, v0, v8
	v_sub_f32_e32 v9, v1, v9
	s_waitcnt lgkmcnt(0)
	v_sub_f32_e32 v12, v4, v12
	v_sub_f32_e32 v13, v5, v13
	v_fma_f32 v0, v0, 2.0, -v8
	v_fma_f32 v1, v1, 2.0, -v9
	;; [unrolled: 1-line block ×4, first 2 shown]
	v_sub_f32_e32 v25, v0, v4
	v_sub_f32_e32 v26, v1, v5
	v_fma_f32 v29, v0, 2.0, -v25
	v_fma_f32 v30, v1, 2.0, -v26
	v_sub_f32_e32 v0, v2, v10
	v_sub_f32_e32 v1, v3, v11
	;; [unrolled: 1-line block ×5, first 2 shown]
	v_add_f32_e32 v28, v9, v12
	v_fma_f32 v2, v2, 2.0, -v0
	v_fma_f32 v3, v3, 2.0, -v1
	;; [unrolled: 1-line block ×6, first 2 shown]
	v_sub_f32_e32 v8, v2, v6
	v_sub_f32_e32 v9, v3, v7
	;; [unrolled: 1-line block ×4, first 2 shown]
	s_load_dwordx2 s[4:5], s[4:5], 0x8
	v_fma_f32 v12, v2, 2.0, -v8
	v_fma_f32 v13, v3, 2.0, -v9
	v_sub_f32_e32 v10, v0, v5
	v_add_f32_e32 v11, v1, v4
	v_fma_f32 v2, v18, 2.0, -v6
	v_fma_f32 v3, v19, 2.0, -v7
	v_sub_f32_e32 v18, v16, v20
	v_sub_f32_e32 v19, v17, v21
	v_fma_f32 v14, v0, 2.0, -v10
	v_fma_f32 v15, v1, 2.0, -v11
	;; [unrolled: 1-line block ×4, first 2 shown]
	s_movk_i32 s2, 0x160
	v_sub_f32_e32 v0, v2, v0
	v_sub_f32_e32 v1, v3, v1
	v_add_co_u32_e32 v24, vcc, 0xb0, v88
	v_add_co_u32_e32 v44, vcc, s2, v88
	v_fma_f32 v4, v2, 2.0, -v0
	v_fma_f32 v5, v3, 2.0, -v1
	v_sub_f32_e32 v2, v6, v19
	v_add_f32_e32 v3, v18, v7
	v_lshlrev_b16_e32 v16, 2, v88
	v_fma_f32 v6, v6, 2.0, -v2
	v_fma_f32 v7, v7, 2.0, -v3
	v_lshlrev_b32_e32 v92, 3, v16
	v_lshlrev_b32_e32 v93, 5, v24
	;; [unrolled: 1-line block ×3, first 2 shown]
	s_waitcnt lgkmcnt(0)
	s_barrier
	ds_write_b128 v92, v[29:32]
	ds_write_b128 v92, v[25:28] offset:16
	ds_write_b128 v93, v[12:15]
	ds_write_b128 v93, v[8:11] offset:16
	s_and_saveexec_b64 s[2:3], s[0:1]
	s_cbranch_execz .LBB0_7
; %bb.6:
	ds_write_b128 v91, v[4:7]
	ds_write_b128 v91, v[0:3] offset:16
.LBB0_7:
	s_or_b64 exec, exec, s[2:3]
	v_add_u32_e32 v12, 0x1800, v87
	s_waitcnt lgkmcnt(0)
	s_barrier
	ds_read2_b64 v[16:19], v12 offset0:24 offset1:200
	v_add_u32_e32 v12, 0xa00, v87
	v_add_u32_e32 v20, 0x2200, v87
	ds_read2_b64 v[8:11], v87 offset1:176
	ds_read2_b64 v[12:15], v12 offset0:32 offset1:208
	ds_read2_b64 v[20:23], v20 offset0:56 offset1:232
	s_movk_i32 s2, 0x58
	v_cmp_gt_u16_e64 s[2:3], s2, v88
	s_and_saveexec_b64 s[6:7], s[2:3]
	s_cbranch_execz .LBB0_9
; %bb.8:
	ds_read_b64 v[4:5], v87 offset:5632
	ds_read_b64 v[6:7], v87 offset:11968
.LBB0_9:
	s_or_b64 exec, exec, s[6:7]
	v_and_b32_e32 v90, 3, v88
	v_lshlrev_b32_e32 v25, 3, v90
	global_load_dwordx2 v[81:82], v25, s[4:5]
	s_movk_i32 s6, 0x2c0
	v_lshlrev_b32_e32 v46, 1, v88
	v_add_co_u32_e32 v28, vcc, s6, v88
	s_movk_i32 s6, 0x1f8
	v_lshlrev_b32_e32 v45, 1, v24
	v_lshlrev_b32_e32 v24, 1, v44
	s_movk_i32 s16, 0x7f8
	v_lshlrev_b32_e32 v94, 1, v28
	s_waitcnt vmcnt(0) lgkmcnt(0)
	s_barrier
	v_mul_f32_e32 v25, v17, v82
	v_fma_f32 v25, v16, v81, -v25
	v_mul_f32_e32 v16, v16, v82
	v_fmac_f32_e32 v16, v17, v81
	v_mul_f32_e32 v17, v19, v82
	v_fma_f32 v17, v18, v81, -v17
	v_mul_f32_e32 v18, v18, v82
	v_fmac_f32_e32 v18, v19, v81
	;; [unrolled: 4-line block ×4, first 2 shown]
	v_mul_f32_e32 v23, v7, v82
	v_fma_f32 v23, v6, v81, -v23
	v_mul_f32_e32 v29, v6, v82
	v_sub_f32_e32 v27, v15, v22
	v_sub_f32_e32 v22, v4, v23
	v_fmac_f32_e32 v29, v7, v81
	v_sub_f32_e32 v7, v9, v16
	v_sub_f32_e32 v16, v10, v17
	;; [unrolled: 1-line block ×5, first 2 shown]
	v_fma_f32 v20, v4, 2.0, -v22
	v_and_or_b32 v4, v46, s6, v90
	s_movk_i32 s6, 0x3f8
	v_lshlrev_b32_e32 v96, 3, v4
	v_and_or_b32 v4, v45, s6, v90
	v_sub_f32_e32 v6, v8, v25
	v_lshlrev_b32_e32 v98, 3, v4
	v_and_or_b32 v4, v24, s16, v90
	v_add_u32_e32 v25, 0x420, v46
	v_sub_f32_e32 v26, v14, v21
	v_sub_f32_e32 v23, v5, v29
	v_lshlrev_b32_e32 v99, 3, v4
	v_and_or_b32 v4, v25, s16, v90
	v_fma_f32 v8, v8, 2.0, -v6
	v_fma_f32 v9, v9, 2.0, -v7
	;; [unrolled: 1-line block ×9, first 2 shown]
	v_lshlrev_b32_e32 v100, 3, v4
	ds_write2_b64 v96, v[8:9], v[6:7] offset1:4
	ds_write2_b64 v98, v[10:11], v[16:17] offset1:4
	ds_write2_b64 v99, v[12:13], v[18:19] offset1:4
	ds_write2_b64 v100, v[14:15], v[26:27] offset1:4
	s_and_saveexec_b64 s[6:7], s[2:3]
	s_cbranch_execz .LBB0_11
; %bb.10:
	v_and_or_b32 v4, v94, s16, v90
	v_lshlrev_b32_e32 v4, 3, v4
	ds_write2_b64 v4, v[20:21], v[22:23] offset1:4
.LBB0_11:
	s_or_b64 exec, exec, s[6:7]
	v_add_u32_e32 v8, 0x1800, v87
	s_waitcnt lgkmcnt(0)
	s_barrier
	ds_read2_b64 v[12:15], v8 offset0:24 offset1:200
	v_add_u32_e32 v8, 0xa00, v87
	v_add_u32_e32 v16, 0x2200, v87
	ds_read2_b64 v[4:7], v87 offset1:176
	ds_read2_b64 v[8:11], v8 offset0:32 offset1:208
	ds_read2_b64 v[16:19], v16 offset0:56 offset1:232
	s_and_saveexec_b64 s[6:7], s[2:3]
	s_cbranch_execz .LBB0_13
; %bb.12:
	ds_read_b64 v[20:21], v87 offset:5632
	ds_read_b64 v[22:23], v87 offset:11968
.LBB0_13:
	s_or_b64 exec, exec, s[6:7]
	v_and_b32_e32 v97, 7, v88
	v_lshlrev_b32_e32 v26, 3, v97
	global_load_dwordx2 v[83:84], v26, s[4:5] offset:32
	s_movk_i32 s6, 0x1f0
	s_movk_i32 s7, 0x3f0
	;; [unrolled: 1-line block ×3, first 2 shown]
	v_and_or_b32 v26, v46, s6, v97
	v_and_or_b32 v27, v45, s7, v97
	;; [unrolled: 1-line block ×4, first 2 shown]
	v_lshlrev_b32_e32 v104, 3, v26
	v_lshlrev_b32_e32 v103, 3, v27
	;; [unrolled: 1-line block ×4, first 2 shown]
	s_waitcnt vmcnt(0) lgkmcnt(0)
	s_barrier
	v_mul_f32_e32 v24, v13, v84
	v_mul_f32_e32 v25, v12, v84
	;; [unrolled: 1-line block ×10, first 2 shown]
	v_fma_f32 v12, v12, v83, -v24
	v_fmac_f32_e32 v25, v13, v83
	v_fma_f32 v13, v14, v83, -v26
	v_fmac_f32_e32 v28, v15, v83
	;; [unrolled: 2-line block ×5, first 2 shown]
	v_sub_f32_e32 v26, v4, v12
	v_sub_f32_e32 v27, v5, v25
	v_sub_f32_e32 v30, v6, v13
	v_sub_f32_e32 v31, v7, v28
	v_sub_f32_e32 v34, v8, v14
	v_sub_f32_e32 v35, v9, v29
	v_sub_f32_e32 v38, v10, v15
	v_sub_f32_e32 v39, v11, v32
	v_sub_f32_e32 v42, v20, v16
	v_sub_f32_e32 v43, v21, v33
	v_fma_f32 v24, v4, 2.0, -v26
	v_fma_f32 v25, v5, 2.0, -v27
	;; [unrolled: 1-line block ×10, first 2 shown]
	ds_write2_b64 v104, v[24:25], v[26:27] offset1:8
	ds_write2_b64 v103, v[28:29], v[30:31] offset1:8
	;; [unrolled: 1-line block ×4, first 2 shown]
	s_and_saveexec_b64 s[6:7], s[2:3]
	s_cbranch_execz .LBB0_15
; %bb.14:
	v_and_or_b32 v4, v94, s16, v97
	v_lshlrev_b32_e32 v4, 3, v4
	ds_write2_b64 v4, v[40:41], v[42:43] offset1:8
.LBB0_15:
	s_or_b64 exec, exec, s[6:7]
	s_movk_i32 s6, 0x90
	v_cmp_gt_u16_e64 s[6:7], s6, v88
	s_waitcnt lgkmcnt(0)
	s_barrier
	s_and_saveexec_b64 s[18:19], s[6:7]
	s_cbranch_execz .LBB0_17
; %bb.16:
	v_add_u32_e32 v0, 0x800, v87
	ds_read2_b64 v[28:31], v0 offset0:32 offset1:176
	v_add_u32_e32 v0, 0x1000, v87
	ds_read2_b64 v[32:35], v0 offset0:64 offset1:208
	;; [unrolled: 2-line block ×3, first 2 shown]
	v_add_u32_e32 v0, 0x2400, v87
	ds_read2_b64 v[24:27], v87 offset1:144
	ds_read2_b64 v[40:43], v0 offset1:144
	ds_read_b64 v[0:1], v87 offset:11520
.LBB0_17:
	s_or_b64 exec, exec, s[18:19]
	v_mov_b32_e32 v4, s4
	v_and_b32_e32 v89, 15, v88
	s_movk_i32 s16, 0x50
	v_mov_b32_e32 v5, s5
	v_mad_u64_u32 v[47:48], s[18:19], v89, s16, v[4:5]
	global_load_dwordx4 v[16:19], v[47:48], off offset:96
	global_load_dwordx4 v[8:11], v[47:48], off offset:112
	;; [unrolled: 1-line block ×5, first 2 shown]
	s_mov_b32 s16, 0x3f575c64
	s_mov_b32 s20, 0x3ed4b147
	;; [unrolled: 1-line block ×5, first 2 shown]
	s_waitcnt vmcnt(0) lgkmcnt(0)
	s_barrier
	v_mul_f32_e32 v47, v26, v17
	v_mul_f32_e32 v48, v28, v19
	v_fmac_f32_e32 v47, v27, v16
	v_mul_f32_e32 v56, v27, v17
	v_mul_f32_e32 v57, v0, v23
	v_mul_f32_e32 v55, v42, v21
	v_fmac_f32_e32 v57, v1, v22
	v_mul_f32_e32 v58, v29, v19
	v_mul_f32_e32 v49, v30, v9
	;; [unrolled: 1-line block ×5, first 2 shown]
	v_fmac_f32_e32 v48, v29, v18
	v_fmac_f32_e32 v55, v43, v20
	v_sub_f32_e32 v116, v47, v57
	v_mul_f32_e32 v59, v31, v9
	v_mul_f32_e32 v50, v32, v11
	v_mul_f32_e32 v85, v37, v7
	v_mul_f32_e32 v53, v38, v13
	v_mul_f32_e32 v105, v43, v21
	v_fma_f32 v56, v26, v16, -v56
	v_fma_f32 v28, v28, v18, -v58
	v_fmac_f32_e32 v49, v31, v8
	v_fmac_f32_e32 v52, v37, v6
	;; [unrolled: 1-line block ×3, first 2 shown]
	v_fma_f32 v37, v0, v22, -v106
	v_sub_f32_e32 v117, v48, v55
	v_mul_f32_e32 v58, 0xbf0a6770, v116
	v_mul_f32_e32 v60, v33, v11
	;; [unrolled: 1-line block ×4, first 2 shown]
	v_fma_f32 v30, v30, v8, -v59
	v_fmac_f32_e32 v50, v33, v10
	v_fma_f32 v33, v36, v6, -v85
	v_fmac_f32_e32 v53, v39, v12
	v_fma_f32 v36, v42, v20, -v105
	v_add_f32_e32 v26, v56, v37
	v_sub_f32_e32 v111, v56, v37
	v_sub_f32_e32 v118, v49, v54
	v_mul_f32_e32 v59, 0xbf68dda4, v117
	v_mov_b32_e32 v0, v58
	v_mul_f32_e32 v61, v35, v5
	v_mul_f32_e32 v86, v39, v13
	v_fma_f32 v31, v32, v10, -v60
	v_fmac_f32_e32 v51, v35, v4
	v_fma_f32 v35, v40, v14, -v95
	v_add_f32_e32 v39, v47, v57
	v_add_f32_e32 v27, v28, v36
	v_sub_f32_e32 v112, v28, v36
	v_sub_f32_e32 v119, v50, v53
	v_mul_f32_e32 v106, 0xbf0a6770, v111
	v_mul_f32_e32 v60, 0xbf7d64f0, v118
	v_mov_b32_e32 v43, v59
	v_fmac_f32_e32 v0, 0x3f575c64, v26
	v_fma_f32 v32, v34, v4, -v61
	v_fma_f32 v34, v38, v12, -v86
	v_add_f32_e32 v40, v48, v55
	v_add_f32_e32 v29, v30, v35
	v_sub_f32_e32 v113, v30, v35
	v_mul_f32_e32 v107, 0xbf68dda4, v112
	v_mul_f32_e32 v61, 0xbf4178ce, v119
	v_fma_f32 v1, v39, s16, -v106
	v_mov_b32_e32 v86, v60
	v_fmac_f32_e32 v43, 0x3ed4b147, v27
	v_add_f32_e32 v0, v24, v0
	v_add_f32_e32 v41, v49, v54
	;; [unrolled: 1-line block ×3, first 2 shown]
	v_sub_f32_e32 v114, v31, v34
	v_mul_f32_e32 v108, 0xbf7d64f0, v113
	v_fma_f32 v85, v40, s20, -v107
	v_add_f32_e32 v1, v25, v1
	v_fmac_f32_e32 v86, 0xbe11bafb, v29
	v_add_f32_e32 v0, v43, v0
	v_mov_b32_e32 v43, v61
	v_add_f32_e32 v42, v50, v53
	v_mul_f32_e32 v109, 0xbf4178ce, v114
	v_fma_f32 v95, v41, s22, -v108
	v_add_f32_e32 v1, v85, v1
	v_add_f32_e32 v0, v86, v0
	v_fmac_f32_e32 v43, 0xbf27a4f4, v38
	v_sub_f32_e32 v129, v51, v52
	v_add_f32_e32 v1, v95, v1
	v_add_f32_e32 v0, v43, v0
	v_fma_f32 v43, v42, s21, -v109
	v_mul_f32_e32 v110, 0xbe903f40, v129
	v_add_f32_e32 v1, v43, v1
	v_add_f32_e32 v43, v32, v33
	v_mov_b32_e32 v85, v110
	v_sub_f32_e32 v125, v32, v33
	v_fmac_f32_e32 v85, 0xbf75a155, v43
	v_add_f32_e32 v105, v51, v52
	v_mul_f32_e32 v115, 0xbe903f40, v125
	v_add_f32_e32 v0, v85, v0
	v_fma_f32 v85, v105, s23, -v115
	v_mul_f32_e32 v120, 0xbf68dda4, v116
	v_add_f32_e32 v1, v85, v1
	v_mov_b32_e32 v85, v120
	v_mul_f32_e32 v121, 0xbf4178ce, v117
	v_fmac_f32_e32 v85, 0x3ed4b147, v26
	v_mov_b32_e32 v86, v121
	v_add_f32_e32 v85, v24, v85
	v_fmac_f32_e32 v86, 0xbf27a4f4, v27
	v_mul_f32_e32 v124, 0xbf68dda4, v111
	v_add_f32_e32 v85, v86, v85
	v_fma_f32 v86, v39, s20, -v124
	v_mul_f32_e32 v126, 0xbf4178ce, v112
	v_add_f32_e32 v86, v25, v86
	v_fma_f32 v95, v40, s21, -v126
	v_mul_f32_e32 v122, 0x3e903f40, v118
	v_add_f32_e32 v86, v95, v86
	v_mov_b32_e32 v95, v122
	v_fmac_f32_e32 v95, 0xbf75a155, v29
	v_mul_f32_e32 v128, 0x3e903f40, v113
	v_add_f32_e32 v85, v95, v85
	v_fma_f32 v95, v41, s23, -v128
	v_mul_f32_e32 v123, 0x3f7d64f0, v119
	v_add_f32_e32 v86, v95, v86
	v_mov_b32_e32 v95, v123
	v_fmac_f32_e32 v95, 0xbe11bafb, v38
	;; [unrolled: 7-line block ×3, first 2 shown]
	v_mul_f32_e32 v131, 0x3f0a6770, v125
	v_add_f32_e32 v85, v95, v85
	v_fma_f32 v95, v105, s16, -v131
	v_add_f32_e32 v86, v95, v86
	v_lshrrev_b32_e32 v95, 4, v88
	s_and_saveexec_b64 s[18:19], s[6:7]
	s_cbranch_execz .LBB0_19
; %bb.18:
	v_mul_f32_e32 v160, 0xbe11bafb, v39
	v_mov_b32_e32 v132, v160
	v_mul_f32_e32 v161, 0xbf75a155, v40
	v_fmac_f32_e32 v132, 0x3f7d64f0, v111
	v_mov_b32_e32 v133, v161
	v_add_f32_e32 v132, v25, v132
	v_fmac_f32_e32 v133, 0xbe903f40, v112
	v_mul_f32_e32 v162, 0x3ed4b147, v41
	v_add_f32_e32 v132, v133, v132
	v_mov_b32_e32 v133, v162
	v_fmac_f32_e32 v133, 0xbf68dda4, v113
	v_mul_f32_e32 v163, 0x3f575c64, v42
	v_add_f32_e32 v132, v133, v132
	v_mov_b32_e32 v133, v163
	v_fmac_f32_e32 v133, 0x3f0a6770, v114
	v_mul_f32_e32 v164, 0xbf27a4f4, v105
	v_add_f32_e32 v132, v133, v132
	v_mov_b32_e32 v133, v164
	v_fmac_f32_e32 v133, 0x3f4178ce, v125
	v_mul_f32_e32 v165, 0xbf7d64f0, v116
	v_add_f32_e32 v133, v133, v132
	v_mov_b32_e32 v132, v165
	v_mul_f32_e32 v166, 0x3e903f40, v117
	v_fmac_f32_e32 v132, 0xbe11bafb, v26
	v_mov_b32_e32 v134, v166
	v_add_f32_e32 v132, v24, v132
	v_fmac_f32_e32 v134, 0xbf75a155, v27
	v_mul_f32_e32 v167, 0x3f68dda4, v118
	v_add_f32_e32 v132, v134, v132
	v_mov_b32_e32 v134, v167
	v_fmac_f32_e32 v134, 0x3ed4b147, v29
	v_mul_f32_e32 v168, 0xbf0a6770, v119
	v_add_f32_e32 v132, v134, v132
	v_mov_b32_e32 v134, v168
	v_fmac_f32_e32 v134, 0x3f575c64, v38
	v_mul_f32_e32 v169, 0xbf4178ce, v129
	v_add_f32_e32 v132, v134, v132
	v_mov_b32_e32 v134, v169
	v_fmac_f32_e32 v134, 0xbf27a4f4, v43
	v_mul_f32_e32 v136, 0xbf75a155, v39
	v_add_f32_e32 v132, v134, v132
	v_mov_b32_e32 v134, v136
	v_mul_f32_e32 v137, 0x3f575c64, v40
	v_fmac_f32_e32 v134, 0x3e903f40, v111
	v_mov_b32_e32 v135, v137
	v_add_f32_e32 v134, v25, v134
	v_fmac_f32_e32 v135, 0xbf0a6770, v112
	v_mul_f32_e32 v138, 0xbf27a4f4, v41
	v_add_f32_e32 v134, v135, v134
	v_mov_b32_e32 v135, v138
	v_fmac_f32_e32 v135, 0x3f4178ce, v113
	v_mul_f32_e32 v139, 0x3ed4b147, v42
	v_add_f32_e32 v134, v135, v134
	v_mov_b32_e32 v135, v139
	v_fmac_f32_e32 v135, 0xbf68dda4, v114
	v_mul_f32_e32 v170, 0xbe11bafb, v105
	v_add_f32_e32 v134, v135, v134
	v_mov_b32_e32 v135, v170
	v_fmac_f32_e32 v135, 0x3f7d64f0, v125
	v_mul_f32_e32 v171, 0xbe903f40, v116
	v_add_f32_e32 v135, v135, v134
	v_mov_b32_e32 v134, v171
	v_mul_f32_e32 v172, 0x3f0a6770, v117
	v_fmac_f32_e32 v134, 0xbf75a155, v26
	v_mov_b32_e32 v173, v172
	v_fmac_f32_e32 v136, 0xbe903f40, v111
	v_add_f32_e32 v134, v24, v134
	v_fmac_f32_e32 v173, 0x3f575c64, v27
	v_add_f32_e32 v136, v25, v136
	;; [unrolled: 2-line block ×3, first 2 shown]
	v_add_f32_e32 v134, v173, v134
	v_mul_f32_e32 v173, 0xbf4178ce, v118
	v_add_f32_e32 v136, v137, v136
	v_fmac_f32_e32 v138, 0xbf4178ce, v113
	v_add_f32_e32 v47, v47, v48
	v_mov_b32_e32 v174, v173
	v_add_f32_e32 v136, v138, v136
	v_fmac_f32_e32 v139, 0x3f68dda4, v114
	v_add_f32_e32 v47, v47, v49
	v_fmac_f32_e32 v174, 0xbf27a4f4, v29
	;; [unrolled: 2-line block ×3, first 2 shown]
	v_fmac_f32_e32 v160, 0xbf7d64f0, v111
	v_add_f32_e32 v47, v47, v50
	v_add_f32_e32 v134, v174, v134
	v_mul_f32_e32 v174, 0x3f68dda4, v119
	v_add_f32_e32 v137, v170, v136
	v_fma_f32 v136, v26, s23, -v171
	v_mul_f32_e32 v170, 0xbf4178ce, v111
	v_add_f32_e32 v111, v25, v160
	v_fmac_f32_e32 v161, 0x3e903f40, v112
	v_add_f32_e32 v47, v47, v51
	v_mov_b32_e32 v175, v174
	v_add_f32_e32 v136, v24, v136
	v_fma_f32 v138, v27, s16, -v172
	v_add_f32_e32 v111, v161, v111
	v_fmac_f32_e32 v162, 0x3f68dda4, v113
	v_add_f32_e32 v47, v47, v52
	v_fmac_f32_e32 v175, 0x3ed4b147, v38
	v_add_f32_e32 v136, v138, v136
	v_fma_f32 v138, v29, s21, -v173
	v_add_f32_e32 v111, v162, v111
	v_fmac_f32_e32 v163, 0xbf0a6770, v114
	v_add_f32_e32 v47, v47, v53
	v_add_f32_e32 v134, v175, v134
	v_mul_f32_e32 v175, 0xbf7d64f0, v129
	v_add_f32_e32 v136, v138, v136
	v_fma_f32 v138, v38, s20, -v174
	v_add_f32_e32 v111, v163, v111
	v_fmac_f32_e32 v164, 0xbf4178ce, v125
	v_add_f32_e32 v47, v47, v54
	v_add_f32_e32 v136, v138, v136
	v_fma_f32 v138, v43, s22, -v175
	v_mul_f32_e32 v171, 0x3f7d64f0, v112
	v_add_f32_e32 v112, v164, v111
	v_fma_f32 v111, v26, s22, -v165
	v_add_f32_e32 v47, v47, v55
	v_add_f32_e32 v136, v138, v136
	v_mov_b32_e32 v138, v170
	v_mul_f32_e32 v172, 0xbf0a6770, v113
	v_add_f32_e32 v111, v24, v111
	v_fma_f32 v113, v27, s23, -v166
	v_add_f32_e32 v48, v47, v57
	v_add_f32_e32 v47, v24, v56
	v_fmac_f32_e32 v138, 0xbf27a4f4, v39
	v_mov_b32_e32 v139, v171
	v_add_f32_e32 v111, v113, v111
	v_fma_f32 v113, v29, s20, -v167
	v_add_f32_e32 v28, v47, v28
	v_add_f32_e32 v138, v25, v138
	v_fmac_f32_e32 v139, 0xbe11bafb, v40
	v_add_f32_e32 v111, v113, v111
	v_fma_f32 v113, v38, s16, -v168
	v_add_f32_e32 v28, v28, v30
	v_mul_f32_e32 v143, 0x3ed4b147, v39
	v_add_f32_e32 v138, v139, v138
	v_mov_b32_e32 v139, v172
	v_add_f32_e32 v111, v113, v111
	v_fma_f32 v113, v43, s21, -v169
	v_add_f32_e32 v28, v28, v31
	v_mul_f32_e32 v147, 0xbf27a4f4, v40
	v_fmac_f32_e32 v139, 0x3f575c64, v41
	v_mul_f32_e32 v173, 0xbe903f40, v114
	v_add_f32_e32 v111, v113, v111
	v_add_f32_e32 v113, v124, v143
	;; [unrolled: 1-line block ×3, first 2 shown]
	v_mul_f32_e32 v151, 0xbf75a155, v41
	v_add_f32_e32 v138, v139, v138
	v_mov_b32_e32 v139, v173
	v_add_f32_e32 v113, v25, v113
	v_add_f32_e32 v114, v126, v147
	;; [unrolled: 1-line block ×3, first 2 shown]
	v_mul_f32_e32 v155, 0xbe11bafb, v42
	v_fmac_f32_e32 v139, 0xbf75a155, v42
	v_mul_f32_e32 v174, 0x3f68dda4, v125
	v_add_f32_e32 v113, v114, v113
	v_add_f32_e32 v114, v128, v151
	;; [unrolled: 1-line block ×3, first 2 shown]
	v_mul_f32_e32 v140, 0x3f575c64, v26
	v_mul_f32_e32 v141, 0x3f575c64, v39
	;; [unrolled: 1-line block ×3, first 2 shown]
	v_add_f32_e32 v138, v139, v138
	v_mov_b32_e32 v139, v174
	v_add_f32_e32 v113, v114, v113
	v_add_f32_e32 v114, v130, v155
	v_add_f32_e32 v28, v28, v35
	v_mul_f32_e32 v142, 0x3ed4b147, v26
	v_mul_f32_e32 v144, 0x3ed4b147, v27
	;; [unrolled: 1-line block ×3, first 2 shown]
	v_fmac_f32_e32 v139, 0x3ed4b147, v105
	v_mul_f32_e32 v116, 0xbf4178ce, v116
	v_add_f32_e32 v113, v114, v113
	v_add_f32_e32 v114, v131, v159
	;; [unrolled: 1-line block ×3, first 2 shown]
	v_sub_f32_e32 v58, v140, v58
	v_add_f32_e32 v28, v28, v36
	v_mul_f32_e32 v146, 0xbf27a4f4, v27
	v_mul_f32_e32 v148, 0xbe11bafb, v29
	;; [unrolled: 1-line block ×3, first 2 shown]
	v_add_f32_e32 v139, v139, v138
	v_fma_f32 v138, v26, s21, -v116
	v_mul_f32_e32 v117, 0x3f7d64f0, v117
	v_add_f32_e32 v114, v114, v113
	v_sub_f32_e32 v113, v142, v120
	v_add_f32_e32 v106, v25, v106
	v_add_f32_e32 v107, v107, v145
	;; [unrolled: 1-line block ×3, first 2 shown]
	v_sub_f32_e32 v59, v144, v59
	v_add_f32_e32 v47, v28, v37
	v_fma_f32 v28, v39, s21, -v170
	v_fmac_f32_e32 v116, 0xbf27a4f4, v26
	v_mul_f32_e32 v150, 0xbf75a155, v29
	v_mul_f32_e32 v152, 0xbf27a4f4, v38
	;; [unrolled: 1-line block ×3, first 2 shown]
	v_mov_b32_e32 v176, v175
	v_add_f32_e32 v138, v24, v138
	v_fma_f32 v175, v27, s22, -v117
	v_mul_f32_e32 v118, 0xbf0a6770, v118
	v_add_f32_e32 v113, v24, v113
	v_sub_f32_e32 v120, v146, v121
	v_add_f32_e32 v106, v107, v106
	v_add_f32_e32 v107, v108, v149
	;; [unrolled: 1-line block ×3, first 2 shown]
	v_sub_f32_e32 v59, v148, v60
	v_add_f32_e32 v25, v25, v28
	v_fma_f32 v28, v40, s22, -v171
	v_add_f32_e32 v24, v24, v116
	v_fmac_f32_e32 v117, 0xbe11bafb, v27
	v_mul_f32_e32 v154, 0xbe11bafb, v38
	v_mul_f32_e32 v156, 0xbf75a155, v43
	;; [unrolled: 1-line block ×3, first 2 shown]
	v_add_f32_e32 v138, v175, v138
	v_fma_f32 v175, v29, s16, -v118
	v_mul_f32_e32 v119, 0xbe903f40, v119
	v_add_f32_e32 v113, v120, v113
	v_sub_f32_e32 v120, v150, v122
	v_add_f32_e32 v106, v107, v106
	v_add_f32_e32 v107, v109, v153
	;; [unrolled: 1-line block ×3, first 2 shown]
	v_sub_f32_e32 v59, v152, v61
	v_add_f32_e32 v25, v28, v25
	v_fma_f32 v28, v41, s16, -v172
	v_add_f32_e32 v24, v117, v24
	v_fmac_f32_e32 v118, 0x3f575c64, v29
	v_mul_u32_u24_e32 v26, 0xb0, v95
	v_mul_f32_e32 v158, 0x3f575c64, v43
	v_add_f32_e32 v138, v175, v138
	v_fma_f32 v175, v38, s23, -v119
	v_mul_f32_e32 v129, 0x3f68dda4, v129
	v_add_f32_e32 v113, v120, v113
	v_sub_f32_e32 v120, v154, v123
	v_add_f32_e32 v106, v107, v106
	v_add_f32_e32 v107, v115, v157
	;; [unrolled: 1-line block ×3, first 2 shown]
	v_sub_f32_e32 v59, v156, v110
	v_add_f32_e32 v25, v28, v25
	v_fma_f32 v28, v42, s23, -v173
	v_add_f32_e32 v24, v118, v24
	v_fmac_f32_e32 v119, 0xbf75a155, v38
	v_or_b32_e32 v26, v26, v89
	v_fmac_f32_e32 v176, 0xbe11bafb, v43
	v_add_f32_e32 v138, v175, v138
	v_fma_f32 v175, v43, s20, -v129
	v_add_f32_e32 v113, v120, v113
	v_sub_f32_e32 v120, v158, v127
	v_add_f32_e32 v107, v107, v106
	v_add_f32_e32 v106, v59, v58
	;; [unrolled: 1-line block ×3, first 2 shown]
	v_fma_f32 v28, v105, s20, -v174
	v_add_f32_e32 v24, v119, v24
	v_fmac_f32_e32 v129, 0x3ed4b147, v43
	v_lshlrev_b32_e32 v26, 3, v26
	v_add_f32_e32 v134, v176, v134
	v_add_f32_e32 v138, v175, v138
	;; [unrolled: 1-line block ×5, first 2 shown]
	ds_write2_b64 v26, v[47:48], v[106:107] offset1:16
	ds_write2_b64 v26, v[113:114], v[111:112] offset0:32 offset1:48
	ds_write2_b64 v26, v[138:139], v[136:137] offset0:64 offset1:80
	;; [unrolled: 1-line block ×4, first 2 shown]
	ds_write_b64 v26, v[0:1] offset:1280
.LBB0_19:
	s_or_b64 exec, exec, s[18:19]
	v_lshlrev_b32_e32 v52, 3, v46
	s_waitcnt lgkmcnt(0)
	s_barrier
	global_load_dwordx4 v[24:27], v52, s[4:5] offset:1376
	v_mov_b32_e32 v53, s5
	s_mov_b32 s5, 0xba2f
	v_mul_u32_u24_sdwa v28, v44, s5 dst_sel:DWORD dst_unused:UNUSED_PAD src0_sel:WORD_0 src1_sel:DWORD
	v_lshrrev_b32_e32 v28, 23, v28
	v_mul_lo_u16_e32 v28, 0xb0, v28
	v_sub_u16_e32 v54, v44, v28
	v_lshlrev_b16_e32 v28, 4, v54
	v_add_co_u32_e32 v28, vcc, s4, v28
	v_addc_co_u32_e32 v29, vcc, 0, v53, vcc
	global_load_dwordx4 v[28:31], v[28:29], off offset:1376
	ds_read2_b64 v[32:35], v87 offset1:176
	v_add_u32_e32 v55, 0xa00, v87
	v_add_u32_e32 v56, 0x2000, v87
	;; [unrolled: 1-line block ×3, first 2 shown]
	ds_read_b64 v[50:51], v87 offset:11264
	ds_read2_b64 v[36:39], v55 offset0:32 offset1:208
	ds_read2_b64 v[40:43], v56 offset0:32 offset1:208
	;; [unrolled: 1-line block ×3, first 2 shown]
	v_add_co_u32_e32 v52, vcc, s4, v52
	v_addc_co_u32_e32 v57, vcc, 0, v53, vcc
	s_movk_i32 s16, 0x1000
	s_waitcnt vmcnt(0) lgkmcnt(0)
	s_barrier
	s_movk_i32 s5, 0x3000
	v_mul_f32_e32 v58, v39, v25
	v_mul_f32_e32 v59, v38, v25
	;; [unrolled: 1-line block ×5, first 2 shown]
	v_fma_f32 v38, v38, v24, -v58
	v_fmac_f32_e32 v59, v39, v24
	v_fma_f32 v39, v40, v26, -v60
	v_mul_f32_e32 v105, v47, v25
	v_mul_f32_e32 v107, v46, v25
	;; [unrolled: 1-line block ×3, first 2 shown]
	v_fmac_f32_e32 v61, v41, v26
	v_fmac_f32_e32 v109, v43, v26
	v_add_f32_e32 v43, v38, v39
	v_fma_f32 v40, v46, v24, -v105
	v_fmac_f32_e32 v107, v47, v24
	v_fma_f32 v41, v42, v26, -v108
	v_add_f32_e32 v42, v32, v38
	v_add_f32_e32 v47, v59, v61
	v_fma_f32 v32, -0.5, v43, v32
	v_sub_f32_e32 v58, v59, v61
	v_add_f32_e32 v46, v33, v59
	v_sub_f32_e32 v59, v38, v39
	v_add_f32_e32 v60, v34, v40
	v_add_f32_e32 v38, v42, v39
	v_fma_f32 v33, -0.5, v47, v33
	v_mov_b32_e32 v42, v32
	v_add_f32_e32 v105, v40, v41
	v_sub_f32_e32 v111, v40, v41
	v_add_f32_e32 v40, v60, v41
	v_fmac_f32_e32 v32, 0xbf5db3d7, v58
	v_mov_b32_e32 v43, v33
	v_fmac_f32_e32 v42, 0x3f5db3d7, v58
	v_mul_f32_e32 v58, v49, v29
	v_mul_f32_e32 v60, v51, v31
	v_fmac_f32_e32 v33, 0x3f5db3d7, v59
	v_fmac_f32_e32 v43, 0xbf5db3d7, v59
	v_mul_f32_e32 v59, v48, v29
	v_fma_f32 v58, v48, v28, -v58
	v_fma_f32 v60, v50, v30, -v60
	v_add_f32_e32 v39, v46, v61
	v_mul_f32_e32 v61, v50, v31
	v_fmac_f32_e32 v59, v49, v28
	v_add_f32_e32 v49, v58, v60
	v_fmac_f32_e32 v61, v51, v30
	v_add_f32_e32 v48, v36, v58
	v_fma_f32 v36, -0.5, v49, v36
	v_sub_f32_e32 v51, v59, v61
	v_mov_b32_e32 v50, v36
	v_sub_f32_e32 v108, v107, v109
	v_add_f32_e32 v110, v35, v107
	v_add_f32_e32 v107, v107, v109
	v_fmac_f32_e32 v36, 0xbf5db3d7, v51
	v_fmac_f32_e32 v50, 0x3f5db3d7, v51
	v_add_f32_e32 v51, v59, v61
	v_fma_f32 v34, -0.5, v105, v34
	v_fmac_f32_e32 v35, -0.5, v107
	v_add_f32_e32 v49, v37, v59
	v_fmac_f32_e32 v37, -0.5, v51
	v_mov_b32_e32 v46, v34
	v_mov_b32_e32 v47, v35
	v_sub_f32_e32 v58, v58, v60
	v_mov_b32_e32 v51, v37
	v_lshlrev_b32_e32 v105, 3, v54
	v_add_f32_e32 v41, v110, v109
	v_fmac_f32_e32 v34, 0xbf5db3d7, v108
	v_fmac_f32_e32 v35, 0x3f5db3d7, v111
	;; [unrolled: 1-line block ×4, first 2 shown]
	v_add_f32_e32 v48, v48, v60
	v_add_f32_e32 v49, v49, v61
	v_fmac_f32_e32 v51, 0xbf5db3d7, v58
	ds_write2_b64 v87, v[38:39], v[42:43] offset1:176
	ds_write2_b64 v55, v[32:33], v[40:41] offset0:32 offset1:208
	ds_write2_b64 v106, v[46:47], v[34:35] offset0:64 offset1:240
	v_add_u32_e32 v32, 0x2000, v105
	v_add_co_u32_e32 v40, vcc, s16, v52
	v_fmac_f32_e32 v37, 0x3f5db3d7, v58
	ds_write2_b64 v32, v[48:49], v[50:51] offset0:32 offset1:208
	ds_write_b64 v105, v[36:37] offset:11264
	v_addc_co_u32_e32 v41, vcc, 0, v57, vcc
	v_lshlrev_b32_e32 v32, 3, v45
	v_add_co_u32_e32 v32, vcc, s4, v32
	v_addc_co_u32_e32 v33, vcc, 0, v53, vcc
	v_add_co_u32_e32 v42, vcc, s16, v32
	s_waitcnt lgkmcnt(0)
	s_barrier
	v_addc_co_u32_e32 v43, vcc, 0, v33, vcc
	global_load_dwordx4 v[36:39], v[40:41], off offset:96
	global_load_dwordx4 v[32:35], v[42:43], off offset:96
	v_lshlrev_b32_e32 v40, 4, v44
	v_add_co_u32_e32 v40, vcc, s4, v40
	v_addc_co_u32_e32 v41, vcc, 0, v53, vcc
	v_add_co_u32_e32 v40, vcc, s16, v40
	v_addc_co_u32_e32 v41, vcc, 0, v41, vcc
	global_load_dwordx4 v[40:43], v[40:41], off offset:96
	v_mov_b32_e32 v44, s17
	v_addc_co_u32_e64 v107, vcc, 0, v44, s[8:9]
	ds_read2_b64 v[44:47], v55 offset0:32 offset1:208
	ds_read2_b64 v[48:51], v87 offset1:176
	ds_read2_b64 v[52:55], v56 offset0:32 offset1:208
	ds_read2_b64 v[56:59], v106 offset0:64 offset1:240
	ds_read_b64 v[60:61], v87 offset:11264
	s_movk_i32 s4, 0x3180
	s_movk_i32 s8, 0x2000
	s_waitcnt vmcnt(2) lgkmcnt(4)
	v_mul_f32_e32 v108, v47, v37
	s_waitcnt lgkmcnt(2)
	v_mul_f32_e32 v110, v53, v39
	v_mul_f32_e32 v109, v46, v37
	v_fma_f32 v108, v46, v36, -v108
	v_fma_f32 v110, v52, v38, -v110
	v_mul_f32_e32 v111, v52, v39
	v_fmac_f32_e32 v109, v47, v36
	v_add_f32_e32 v47, v108, v110
	v_fmac_f32_e32 v111, v53, v38
	v_add_f32_e32 v46, v48, v108
	v_fma_f32 v48, -0.5, v47, v48
	v_sub_f32_e32 v53, v109, v111
	v_mov_b32_e32 v52, v48
	s_waitcnt vmcnt(1) lgkmcnt(1)
	v_mul_f32_e32 v112, v57, v33
	v_mul_f32_e32 v113, v56, v33
	;; [unrolled: 1-line block ×3, first 2 shown]
	v_fmac_f32_e32 v52, 0x3f5db3d7, v53
	v_fmac_f32_e32 v48, 0xbf5db3d7, v53
	v_add_f32_e32 v53, v109, v111
	v_mul_f32_e32 v115, v54, v35
	v_fma_f32 v112, v56, v32, -v112
	v_fmac_f32_e32 v113, v57, v32
	v_fma_f32 v57, v54, v34, -v114
	v_add_f32_e32 v47, v49, v109
	v_fma_f32 v49, -0.5, v53, v49
	v_fmac_f32_e32 v115, v55, v34
	v_sub_f32_e32 v54, v108, v110
	v_mov_b32_e32 v53, v49
	v_add_f32_e32 v55, v112, v57
	s_waitcnt vmcnt(0)
	v_mul_f32_e32 v116, v59, v41
	v_fmac_f32_e32 v53, 0xbf5db3d7, v54
	v_fmac_f32_e32 v49, 0x3f5db3d7, v54
	v_add_f32_e32 v54, v50, v112
	v_fma_f32 v50, -0.5, v55, v50
	v_mul_f32_e32 v117, v58, v41
	s_waitcnt lgkmcnt(0)
	v_mul_f32_e32 v118, v61, v43
	v_fma_f32 v114, v58, v40, -v116
	v_sub_f32_e32 v55, v113, v115
	v_mov_b32_e32 v56, v50
	v_add_f32_e32 v58, v113, v115
	v_fma_f32 v116, v60, v42, -v118
	v_fmac_f32_e32 v56, 0x3f5db3d7, v55
	v_fmac_f32_e32 v50, 0xbf5db3d7, v55
	v_add_f32_e32 v55, v51, v113
	v_fmac_f32_e32 v51, -0.5, v58
	v_mul_f32_e32 v119, v60, v43
	v_fmac_f32_e32 v117, v59, v40
	v_add_f32_e32 v54, v54, v57
	v_sub_f32_e32 v58, v112, v57
	v_mov_b32_e32 v57, v51
	v_add_f32_e32 v59, v114, v116
	v_fmac_f32_e32 v119, v61, v42
	v_fmac_f32_e32 v57, 0xbf5db3d7, v58
	v_fmac_f32_e32 v51, 0x3f5db3d7, v58
	v_add_f32_e32 v58, v44, v114
	v_fma_f32 v44, -0.5, v59, v44
	v_sub_f32_e32 v59, v117, v119
	v_mov_b32_e32 v60, v44
	v_add_f32_e32 v61, v117, v119
	v_fmac_f32_e32 v60, 0x3f5db3d7, v59
	v_fmac_f32_e32 v44, 0xbf5db3d7, v59
	v_add_f32_e32 v59, v45, v117
	v_fmac_f32_e32 v45, -0.5, v61
	v_add_f32_e32 v46, v46, v110
	v_sub_f32_e32 v108, v114, v116
	v_mov_b32_e32 v61, v45
	v_add_f32_e32 v47, v47, v111
	v_add_f32_e32 v55, v55, v115
	;; [unrolled: 1-line block ×4, first 2 shown]
	v_fmac_f32_e32 v61, 0xbf5db3d7, v108
	v_fmac_f32_e32 v45, 0x3f5db3d7, v108
	ds_write_b64 v87, v[52:53] offset:4224
	ds_write_b64 v87, v[48:49] offset:8448
	ds_write2_b64 v87, v[46:47], v[54:55] offset1:176
	ds_write_b64 v87, v[50:51] offset:9856
	ds_write_b64 v87, v[58:59] offset:2816
	ds_write2_b64 v106, v[56:57], v[60:61] offset0:64 offset1:240
	ds_write_b64 v87, v[44:45] offset:11264
	v_add_co_u32_e32 v46, vcc, s5, v62
	v_addc_co_u32_e32 v47, vcc, 0, v107, vcc
	s_waitcnt lgkmcnt(0)
	s_barrier
	global_load_dwordx2 v[52:53], v[46:47], off offset:384
	v_add_co_u32_e32 v46, vcc, s4, v62
	v_addc_co_u32_e32 v47, vcc, 0, v107, vcc
	s_movk_i32 s4, 0x4000
	v_add_co_u32_e32 v48, vcc, s4, v62
	v_addc_co_u32_e32 v49, vcc, 0, v107, vcc
	global_load_dwordx2 v[59:60], v[48:49], off offset:864
	global_load_dwordx2 v[110:111], v[46:47], off offset:3168
	;; [unrolled: 1-line block ×3, first 2 shown]
	s_movk_i32 s4, 0x5000
	v_add_co_u32_e32 v50, vcc, s4, v62
	v_addc_co_u32_e32 v51, vcc, 0, v107, vcc
	global_load_dwordx2 v[116:117], v[50:51], off offset:1696
	global_load_dwordx2 v[118:119], v[46:47], off offset:1408
	;; [unrolled: 1-line block ×4, first 2 shown]
	ds_read2_b64 v[48:51], v87 offset1:176
	s_waitcnt vmcnt(7) lgkmcnt(0)
	v_mul_f32_e32 v54, v49, v53
	v_mul_f32_e32 v55, v48, v53
	v_fma_f32 v54, v48, v52, -v54
	v_fmac_f32_e32 v55, v49, v52
	ds_write_b64 v87, v[54:55]
	v_add_u32_e32 v48, 0xc00, v87
	ds_read2_b64 v[55:58], v48 offset0:12 offset1:188
	v_add_u32_e32 v54, 0x1800, v87
	ds_read2_b64 v[106:109], v54 offset0:24 offset1:200
	s_waitcnt vmcnt(5) lgkmcnt(1)
	v_mul_f32_e32 v49, v56, v111
	v_fma_f32 v52, v55, v110, -v49
	v_mul_f32_e32 v53, v55, v111
	v_add_u32_e32 v55, 0x2400, v87
	v_fmac_f32_e32 v53, v56, v110
	ds_read2_b64 v[110:113], v55 offset0:36 offset1:212
	s_waitcnt vmcnt(4) lgkmcnt(1)
	v_mul_f32_e32 v49, v107, v115
	v_fma_f32 v124, v106, v114, -v49
	v_mul_f32_e32 v125, v106, v115
	v_fmac_f32_e32 v125, v107, v114
	s_waitcnt vmcnt(3) lgkmcnt(0)
	v_mul_f32_e32 v49, v111, v117
	v_fma_f32 v106, v110, v116, -v49
	s_waitcnt vmcnt(2)
	v_mul_f32_e32 v49, v51, v119
	v_fma_f32 v49, v50, v118, -v49
	v_mul_f32_e32 v50, v50, v119
	v_fmac_f32_e32 v50, v51, v118
	v_add_u32_e32 v51, 0x500, v87
	ds_write2_b64 v51, v[49:50], v[52:53] offset0:16 offset1:236
	v_mul_f32_e32 v49, v58, v60
	v_mul_f32_e32 v50, v57, v60
	v_fma_f32 v49, v57, v59, -v49
	v_fmac_f32_e32 v50, v58, v59
	v_add_u32_e32 v51, 0x1100, v87
	v_mul_f32_e32 v107, v110, v117
	ds_write2_b64 v51, v[49:50], v[124:125] offset0:28 offset1:248
	s_waitcnt vmcnt(0)
	v_mul_f32_e32 v49, v109, v123
	v_mul_f32_e32 v50, v108, v123
	v_fmac_f32_e32 v107, v111, v116
	v_fma_f32 v49, v108, v122, -v49
	v_fmac_f32_e32 v50, v109, v122
	v_add_u32_e32 v51, 0x1e00, v87
	ds_write2_b64 v51, v[49:50], v[106:107] offset0:8 offset1:228
	v_mul_f32_e32 v49, v113, v121
	v_mul_f32_e32 v50, v112, v121
	v_fma_f32 v49, v112, v120, -v49
	v_fmac_f32_e32 v50, v113, v120
	ds_write_b64 v87, v[49:50] offset:10912
	s_and_saveexec_b64 s[4:5], s[0:1]
	s_cbranch_execz .LBB0_21
; %bb.20:
	v_add_co_u32_e32 v51, vcc, s16, v46
	v_addc_co_u32_e32 v52, vcc, 0, v47, vcc
	v_add_co_u32_e32 v56, vcc, s8, v46
	global_load_dwordx2 v[49:50], v[46:47], off offset:2816
	v_addc_co_u32_e32 v57, vcc, 0, v47, vcc
	global_load_dwordx2 v[56:57], v[56:57], off offset:960
	v_add_co_u32_e32 v46, vcc, 0x3000, v46
	global_load_dwordx2 v[51:52], v[51:52], off offset:1888
	v_addc_co_u32_e32 v47, vcc, 0, v47, vcc
	global_load_dwordx2 v[46:47], v[46:47], off offset:32
	ds_read_b64 v[58:59], v87 offset:2816
	ds_read_b64 v[60:61], v87 offset:5984
	;; [unrolled: 1-line block ×4, first 2 shown]
	s_waitcnt vmcnt(3) lgkmcnt(3)
	v_mul_f32_e32 v53, v59, v50
	v_mul_f32_e32 v111, v58, v50
	v_fma_f32 v110, v58, v49, -v53
	v_fmac_f32_e32 v111, v59, v49
	ds_write_b64 v87, v[110:111] offset:2816
	s_waitcnt vmcnt(1) lgkmcnt(3)
	v_mul_f32_e32 v49, v61, v52
	v_mul_f32_e32 v50, v60, v52
	v_fma_f32 v49, v60, v51, -v49
	v_fmac_f32_e32 v50, v61, v51
	s_waitcnt lgkmcnt(2)
	v_mul_f32_e32 v52, v107, v57
	v_mul_f32_e32 v51, v106, v57
	ds_write_b64 v87, v[49:50] offset:5984
	v_fma_f32 v50, v106, v56, -v52
	v_fmac_f32_e32 v51, v107, v56
	s_waitcnt vmcnt(0) lgkmcnt(2)
	v_mul_f32_e32 v49, v109, v47
	v_mul_f32_e32 v52, v108, v47
	ds_write_b64 v87, v[50:51] offset:9152
	v_fma_f32 v51, v108, v46, -v49
	v_fmac_f32_e32 v52, v109, v46
	ds_write_b64 v87, v[51:52] offset:12320
.LBB0_21:
	s_or_b64 exec, exec, s[4:5]
	s_waitcnt lgkmcnt(0)
	s_barrier
	ds_read2_b64 v[50:53], v87 offset1:176
	ds_read2_b64 v[46:49], v48 offset0:12 offset1:188
	ds_read2_b64 v[58:61], v54 offset0:24 offset1:200
	;; [unrolled: 1-line block ×3, first 2 shown]
	s_and_saveexec_b64 s[4:5], s[0:1]
	s_cbranch_execz .LBB0_23
; %bb.22:
	ds_read_b64 v[44:45], v87 offset:2816
	ds_read_b64 v[85:86], v87 offset:5984
	ds_read_b64 v[0:1], v87 offset:9152
	ds_read_b64 v[2:3], v87 offset:12320
.LBB0_23:
	s_or_b64 exec, exec, s[4:5]
	s_waitcnt lgkmcnt(1)
	v_sub_f32_e32 v58, v50, v58
	v_sub_f32_e32 v59, v51, v59
	s_waitcnt lgkmcnt(0)
	v_sub_f32_e32 v54, v46, v54
	v_sub_f32_e32 v55, v47, v55
	v_fma_f32 v50, v50, 2.0, -v58
	v_fma_f32 v51, v51, 2.0, -v59
	;; [unrolled: 1-line block ×4, first 2 shown]
	v_sub_f32_e32 v106, v50, v46
	v_sub_f32_e32 v107, v51, v47
	v_add_f32_e32 v108, v58, v55
	v_sub_f32_e32 v109, v59, v54
	v_sub_f32_e32 v46, v52, v60
	;; [unrolled: 1-line block ×5, first 2 shown]
	v_fma_f32 v110, v50, 2.0, -v106
	v_fma_f32 v111, v51, 2.0, -v107
	;; [unrolled: 1-line block ×6, first 2 shown]
	v_sub_f32_e32 v48, v50, v48
	v_sub_f32_e32 v49, v51, v49
	;; [unrolled: 1-line block ×6, first 2 shown]
	v_fma_f32 v52, v50, 2.0, -v48
	v_fma_f32 v53, v51, 2.0, -v49
	v_add_f32_e32 v50, v46, v55
	v_sub_f32_e32 v51, v47, v54
	v_fma_f32 v0, v44, 2.0, -v56
	v_fma_f32 v1, v45, 2.0, -v57
	;; [unrolled: 1-line block ×6, first 2 shown]
	v_sub_f32_e32 v44, v0, v44
	v_sub_f32_e32 v45, v1, v45
	v_add_f32_e32 v46, v3, v56
	v_sub_f32_e32 v47, v57, v2
	v_fma_f32 v112, v58, 2.0, -v108
	v_fma_f32 v113, v59, 2.0, -v109
	;; [unrolled: 1-line block ×6, first 2 shown]
	s_barrier
	ds_write_b128 v92, v[110:113]
	ds_write_b128 v92, v[106:109] offset:16
	ds_write_b128 v93, v[52:55]
	ds_write_b128 v93, v[48:51] offset:16
	s_and_saveexec_b64 s[4:5], s[0:1]
	s_cbranch_execz .LBB0_25
; %bb.24:
	ds_write_b128 v91, v[0:3]
	ds_write_b128 v91, v[44:47] offset:16
.LBB0_25:
	s_or_b64 exec, exec, s[4:5]
	v_add_u32_e32 v50, 0x1800, v87
	s_waitcnt lgkmcnt(0)
	s_barrier
	ds_read2_b64 v[58:61], v50 offset0:24 offset1:200
	v_add_u32_e32 v50, 0xa00, v87
	v_add_u32_e32 v54, 0x2200, v87
	ds_read2_b64 v[46:49], v87 offset1:176
	ds_read2_b64 v[50:53], v50 offset0:32 offset1:208
	ds_read2_b64 v[54:57], v54 offset0:56 offset1:232
	s_and_saveexec_b64 s[4:5], s[2:3]
	s_cbranch_execz .LBB0_27
; %bb.26:
	ds_read_b64 v[0:1], v87 offset:5632
	ds_read_b64 v[2:3], v87 offset:11968
.LBB0_27:
	s_or_b64 exec, exec, s[4:5]
	s_waitcnt lgkmcnt(3)
	v_mul_f32_e32 v85, v82, v59
	v_fmac_f32_e32 v85, v81, v58
	v_mul_f32_e32 v58, v82, v58
	v_fma_f32 v58, v81, v59, -v58
	v_mul_f32_e32 v59, v82, v61
	v_fmac_f32_e32 v59, v81, v60
	v_mul_f32_e32 v60, v82, v60
	v_fma_f32 v60, v81, v61, -v60
	s_waitcnt lgkmcnt(0)
	v_mul_f32_e32 v61, v82, v55
	v_fmac_f32_e32 v61, v81, v54
	v_mul_f32_e32 v54, v82, v54
	v_fma_f32 v54, v81, v55, -v54
	v_mul_f32_e32 v55, v82, v57
	v_mul_f32_e32 v91, v82, v3
	v_fmac_f32_e32 v55, v81, v56
	v_mul_f32_e32 v56, v82, v56
	v_fmac_f32_e32 v91, v81, v2
	v_mul_f32_e32 v2, v82, v2
	v_fma_f32 v86, v81, v57, -v56
	v_fma_f32 v81, v81, v3, -v2
	v_sub_f32_e32 v2, v46, v85
	v_sub_f32_e32 v3, v47, v58
	;; [unrolled: 1-line block ×8, first 2 shown]
	v_fma_f32 v46, v46, 2.0, -v2
	v_fma_f32 v47, v47, 2.0, -v3
	v_sub_f32_e32 v58, v50, v61
	v_sub_f32_e32 v61, v53, v86
	v_fma_f32 v81, v0, 2.0, -v54
	v_fma_f32 v82, v1, 2.0, -v55
	;; [unrolled: 1-line block ×8, first 2 shown]
	s_barrier
	ds_write2_b64 v96, v[46:47], v[2:3] offset1:4
	ds_write2_b64 v98, v[48:49], v[56:57] offset1:4
	;; [unrolled: 1-line block ×4, first 2 shown]
	s_and_saveexec_b64 s[4:5], s[2:3]
	s_cbranch_execz .LBB0_29
; %bb.28:
	s_movk_i32 s8, 0x7f8
	v_and_or_b32 v0, v94, s8, v90
	v_lshlrev_b32_e32 v0, 3, v0
	ds_write2_b64 v0, v[81:82], v[54:55] offset1:4
.LBB0_29:
	s_or_b64 exec, exec, s[4:5]
	v_add_u32_e32 v0, 0x1800, v87
	s_waitcnt lgkmcnt(0)
	s_barrier
	ds_read2_b64 v[50:53], v0 offset0:24 offset1:200
	v_add_u32_e32 v0, 0xa00, v87
	ds_read2_b64 v[58:61], v0 offset0:32 offset1:208
	v_add_u32_e32 v0, 0x2200, v87
	ds_read2_b64 v[46:49], v87 offset1:176
	ds_read2_b64 v[0:3], v0 offset0:56 offset1:232
	s_and_saveexec_b64 s[4:5], s[2:3]
	s_cbranch_execz .LBB0_31
; %bb.30:
	ds_read_b64 v[81:82], v87 offset:5632
	ds_read_b64 v[54:55], v87 offset:11968
.LBB0_31:
	s_or_b64 exec, exec, s[4:5]
	s_waitcnt lgkmcnt(3)
	v_mul_f32_e32 v56, v84, v51
	v_fmac_f32_e32 v56, v83, v50
	v_mul_f32_e32 v50, v84, v50
	v_fma_f32 v50, v83, v51, -v50
	v_mul_f32_e32 v51, v84, v53
	v_fmac_f32_e32 v51, v83, v52
	v_mul_f32_e32 v52, v84, v52
	v_fma_f32 v52, v83, v53, -v52
	s_waitcnt lgkmcnt(0)
	v_mul_f32_e32 v53, v84, v1
	v_fmac_f32_e32 v53, v83, v0
	v_mul_f32_e32 v0, v84, v0
	v_fma_f32 v85, v83, v1, -v0
	v_mul_f32_e32 v86, v84, v3
	v_mul_f32_e32 v0, v84, v2
	v_fmac_f32_e32 v86, v83, v2
	v_fma_f32 v90, v83, v3, -v0
	v_mul_f32_e32 v91, v84, v55
	v_mul_f32_e32 v0, v84, v54
	v_sub_f32_e32 v2, v46, v56
	v_sub_f32_e32 v56, v48, v51
	v_fmac_f32_e32 v91, v83, v54
	v_fma_f32 v83, v83, v55, -v0
	v_sub_f32_e32 v57, v49, v52
	v_fma_f32 v54, v48, 2.0, -v56
	v_sub_f32_e32 v48, v58, v53
	v_sub_f32_e32 v52, v60, v86
	;; [unrolled: 1-line block ×4, first 2 shown]
	v_fma_f32 v55, v49, 2.0, -v57
	v_sub_f32_e32 v49, v59, v85
	v_fma_f32 v50, v60, 2.0, -v52
	v_fma_f32 v51, v61, 2.0, -v53
	v_sub_f32_e32 v60, v81, v91
	v_sub_f32_e32 v61, v82, v83
	v_fma_f32 v0, v46, 2.0, -v2
	v_fma_f32 v1, v47, 2.0, -v3
	v_fma_f32 v46, v58, 2.0, -v48
	v_fma_f32 v47, v59, 2.0, -v49
	v_fma_f32 v58, v81, 2.0, -v60
	v_fma_f32 v59, v82, 2.0, -v61
	s_barrier
	ds_write2_b64 v104, v[0:1], v[2:3] offset1:8
	ds_write2_b64 v103, v[54:55], v[56:57] offset1:8
	;; [unrolled: 1-line block ×4, first 2 shown]
	s_and_saveexec_b64 s[4:5], s[2:3]
	s_cbranch_execz .LBB0_33
; %bb.32:
	s_movk_i32 s2, 0x7f0
	v_and_or_b32 v81, v94, s2, v97
	v_lshlrev_b32_e32 v81, 3, v81
	ds_write2_b64 v81, v[58:59], v[60:61] offset1:8
.LBB0_33:
	s_or_b64 exec, exec, s[4:5]
	s_waitcnt lgkmcnt(0)
	s_barrier
	s_and_saveexec_b64 s[2:3], s[6:7]
	s_cbranch_execz .LBB0_35
; %bb.34:
	v_add_u32_e32 v44, 0x800, v87
	ds_read2_b64 v[54:57], v44 offset0:32 offset1:176
	v_add_u32_e32 v44, 0x1000, v87
	ds_read2_b64 v[46:49], v44 offset0:64 offset1:208
	;; [unrolled: 2-line block ×3, first 2 shown]
	v_add_u32_e32 v44, 0x2400, v87
	ds_read2_b64 v[0:3], v87 offset1:144
	ds_read2_b64 v[58:61], v44 offset1:144
	ds_read_b64 v[44:45], v87 offset:11520
.LBB0_35:
	s_or_b64 exec, exec, s[2:3]
	s_waitcnt lgkmcnt(0)
	s_barrier
	s_and_saveexec_b64 s[2:3], s[6:7]
	s_cbranch_execz .LBB0_37
; %bb.36:
	v_mul_f32_e32 v81, v17, v3
	v_mul_f32_e32 v82, v23, v45
	;; [unrolled: 1-line block ×3, first 2 shown]
	v_fmac_f32_e32 v81, v16, v2
	v_fmac_f32_e32 v82, v22, v44
	v_fma_f32 v22, v22, v45, -v23
	v_mul_f32_e32 v2, v17, v2
	v_mul_f32_e32 v45, v19, v55
	;; [unrolled: 1-line block ×3, first 2 shown]
	v_sub_f32_e32 v83, v81, v82
	v_fma_f32 v23, v16, v3, -v2
	v_fmac_f32_e32 v45, v18, v54
	v_fmac_f32_e32 v85, v20, v60
	v_mul_f32_e32 v3, v21, v60
	v_mul_f32_e32 v84, 0xbf0a6770, v83
	v_sub_f32_e32 v86, v45, v85
	v_fma_f32 v20, v20, v61, -v3
	v_mul_f32_e32 v3, v19, v54
	v_add_f32_e32 v44, v22, v23
	v_mov_b32_e32 v2, v84
	v_mul_f32_e32 v90, 0xbf68dda4, v86
	v_fma_f32 v21, v18, v55, -v3
	v_fmac_f32_e32 v2, 0x3f575c64, v44
	v_add_f32_e32 v18, v20, v21
	v_mov_b32_e32 v3, v90
	v_add_f32_e32 v2, v1, v2
	v_fmac_f32_e32 v3, 0x3ed4b147, v18
	v_mul_f32_e32 v54, v9, v57
	v_mul_f32_e32 v55, v15, v59
	v_add_f32_e32 v2, v3, v2
	v_fmac_f32_e32 v54, v8, v56
	v_fmac_f32_e32 v55, v14, v58
	v_mul_f32_e32 v3, v15, v58
	v_sub_f32_e32 v60, v54, v55
	v_fma_f32 v58, v14, v59, -v3
	v_mul_f32_e32 v3, v9, v56
	v_mul_f32_e32 v19, 0xbf7d64f0, v60
	v_fma_f32 v56, v8, v57, -v3
	v_add_f32_e32 v57, v58, v56
	v_mov_b32_e32 v3, v19
	v_fmac_f32_e32 v3, 0xbe11bafb, v57
	v_mul_f32_e32 v59, v11, v47
	v_mul_f32_e32 v61, v13, v53
	v_add_f32_e32 v2, v3, v2
	v_fmac_f32_e32 v59, v10, v46
	v_fmac_f32_e32 v61, v12, v52
	v_mul_f32_e32 v3, v13, v52
	v_sub_f32_e32 v91, v59, v61
	v_fma_f32 v52, v12, v53, -v3
	v_mul_f32_e32 v3, v11, v46
	v_mul_f32_e32 v92, 0xbf4178ce, v91
	v_fma_f32 v46, v10, v47, -v3
	v_add_f32_e32 v47, v52, v46
	v_mov_b32_e32 v3, v92
	;; [unrolled: 14-line block ×3, first 2 shown]
	v_sub_f32_e32 v12, v23, v22
	s_mov_b32 s4, 0x3f575c64
	v_fmac_f32_e32 v3, 0xbf75a155, v49
	v_add_f32_e32 v51, v82, v81
	v_mul_f32_e32 v97, 0xbf0a6770, v12
	v_sub_f32_e32 v14, v21, v20
	s_mov_b32 s5, 0x3ed4b147
	v_add_f32_e32 v3, v3, v2
	v_fma_f32 v2, v51, s4, -v97
	v_add_f32_e32 v98, v85, v45
	v_mul_f32_e32 v99, 0xbf68dda4, v14
	v_sub_f32_e32 v15, v56, v58
	s_mov_b32 s6, 0xbe11bafb
	v_add_f32_e32 v2, v0, v2
	v_fma_f32 v4, v98, s5, -v99
	;; [unrolled: 6-line block ×4, first 2 shown]
	v_add_f32_e32 v104, v93, v53
	v_mul_f32_e32 v106, 0xbe903f40, v17
	v_add_f32_e32 v2, v4, v2
	v_fma_f32 v4, v104, s8, -v106
	v_mul_f32_e32 v107, 0xbf68dda4, v83
	v_add_f32_e32 v2, v4, v2
	v_mov_b32_e32 v4, v107
	v_mul_f32_e32 v108, 0xbf4178ce, v86
	v_fmac_f32_e32 v4, 0x3ed4b147, v44
	v_mov_b32_e32 v5, v108
	v_add_f32_e32 v4, v1, v4
	v_fmac_f32_e32 v5, 0xbf27a4f4, v18
	v_mul_f32_e32 v109, 0x3e903f40, v60
	v_add_f32_e32 v4, v5, v4
	v_mov_b32_e32 v5, v109
	v_fmac_f32_e32 v5, 0xbf75a155, v57
	v_mul_f32_e32 v110, 0x3f7d64f0, v91
	v_add_f32_e32 v4, v5, v4
	v_mov_b32_e32 v5, v110
	;; [unrolled: 4-line block ×3, first 2 shown]
	v_fmac_f32_e32 v5, 0x3f575c64, v49
	v_mul_f32_e32 v112, 0xbf68dda4, v12
	v_add_f32_e32 v5, v5, v4
	v_fma_f32 v4, v51, s5, -v112
	v_mul_f32_e32 v113, 0xbf4178ce, v14
	v_add_f32_e32 v4, v0, v4
	v_fma_f32 v6, v98, s7, -v113
	;; [unrolled: 3-line block ×5, first 2 shown]
	v_mul_f32_e32 v117, 0xbf7d64f0, v83
	v_add_f32_e32 v4, v6, v4
	v_mov_b32_e32 v6, v117
	v_mul_f32_e32 v118, 0x3e903f40, v86
	v_fmac_f32_e32 v6, 0xbe11bafb, v44
	v_mov_b32_e32 v7, v118
	v_add_f32_e32 v6, v1, v6
	v_fmac_f32_e32 v7, 0xbf75a155, v18
	v_mul_f32_e32 v119, 0x3f68dda4, v60
	v_add_f32_e32 v6, v7, v6
	v_mov_b32_e32 v7, v119
	v_fmac_f32_e32 v7, 0x3ed4b147, v57
	v_mul_f32_e32 v120, 0xbf0a6770, v91
	v_add_f32_e32 v6, v7, v6
	v_mov_b32_e32 v7, v120
	;; [unrolled: 4-line block ×3, first 2 shown]
	v_fmac_f32_e32 v7, 0xbf27a4f4, v49
	v_mul_f32_e32 v122, 0xbf7d64f0, v12
	v_add_f32_e32 v7, v7, v6
	v_fma_f32 v6, v51, s6, -v122
	v_mul_f32_e32 v123, 0x3e903f40, v14
	v_add_f32_e32 v6, v0, v6
	v_fma_f32 v8, v98, s8, -v123
	;; [unrolled: 3-line block ×5, first 2 shown]
	v_mul_f32_e32 v10, 0xbe903f40, v83
	v_add_f32_e32 v6, v8, v6
	v_mov_b32_e32 v8, v10
	v_mul_f32_e32 v11, 0x3f0a6770, v86
	v_fmac_f32_e32 v8, 0xbf75a155, v44
	v_mov_b32_e32 v9, v11
	v_add_f32_e32 v8, v1, v8
	v_fmac_f32_e32 v9, 0x3f575c64, v18
	v_mul_f32_e32 v13, 0xbf4178ce, v60
	v_add_f32_e32 v8, v9, v8
	v_mov_b32_e32 v9, v13
	v_fmac_f32_e32 v9, 0xbf27a4f4, v57
	v_mul_f32_e32 v127, 0x3f68dda4, v91
	v_add_f32_e32 v8, v9, v8
	v_mov_b32_e32 v9, v127
	v_fma_f32 v10, v44, s8, -v10
	v_fmac_f32_e32 v9, 0x3ed4b147, v47
	v_mul_f32_e32 v128, 0xbf7d64f0, v94
	v_add_f32_e32 v10, v1, v10
	v_fma_f32 v11, v18, s4, -v11
	v_add_f32_e32 v8, v9, v8
	v_mov_b32_e32 v9, v128
	v_add_f32_e32 v10, v11, v10
	v_fma_f32 v11, v57, s7, -v13
	v_fmac_f32_e32 v9, 0xbe11bafb, v49
	v_mul_f32_e32 v129, 0xbe903f40, v12
	v_add_f32_e32 v10, v11, v10
	v_fma_f32 v11, v47, s5, -v127
	v_mul_f32_e32 v127, 0xbf27a4f4, v44
	v_add_f32_e32 v9, v9, v8
	v_fma_f32 v8, v51, s8, -v129
	v_add_f32_e32 v10, v11, v10
	v_fma_f32 v11, v49, s6, -v128
	v_fmac_f32_e32 v129, 0xbf75a155, v51
	v_mov_b32_e32 v13, v127
	v_mul_f32_e32 v128, 0xbe11bafb, v18
	v_add_f32_e32 v11, v11, v10
	v_add_f32_e32 v10, v0, v129
	v_fmac_f32_e32 v13, 0x3f4178ce, v83
	v_mov_b32_e32 v129, v128
	v_mul_f32_e32 v130, 0x3f0a6770, v14
	v_add_f32_e32 v13, v1, v13
	v_fmac_f32_e32 v129, 0xbf7d64f0, v86
	v_fma_f32 v131, v98, s4, -v130
	v_fmac_f32_e32 v130, 0x3f575c64, v98
	v_add_f32_e32 v13, v129, v13
	v_mul_f32_e32 v129, 0x3f575c64, v57
	v_add_f32_e32 v8, v0, v8
	v_add_f32_e32 v10, v130, v10
	v_mov_b32_e32 v130, v129
	v_add_f32_e32 v8, v131, v8
	v_mul_f32_e32 v131, 0xbf4178ce, v15
	v_fmac_f32_e32 v130, 0x3f0a6770, v60
	v_fma_f32 v132, v100, s7, -v131
	v_fmac_f32_e32 v131, 0xbf27a4f4, v100
	v_add_f32_e32 v13, v130, v13
	v_mul_f32_e32 v130, 0xbf75a155, v47
	v_add_f32_e32 v10, v131, v10
	v_mov_b32_e32 v131, v130
	v_add_f32_e32 v8, v132, v8
	v_mul_f32_e32 v132, 0x3f68dda4, v16
	v_fmac_f32_e32 v131, 0x3e903f40, v91
	v_fma_f32 v133, v102, s5, -v132
	v_fmac_f32_e32 v132, 0x3ed4b147, v102
	v_add_f32_e32 v13, v131, v13
	v_mul_f32_e32 v131, 0x3ed4b147, v49
	;; [unrolled: 9-line block ×3, first 2 shown]
	v_add_f32_e32 v10, v133, v10
	v_mov_b32_e32 v12, v132
	v_mul_f32_e32 v133, 0x3f7d64f0, v14
	v_fmac_f32_e32 v12, 0xbf27a4f4, v51
	v_mov_b32_e32 v14, v133
	v_add_f32_e32 v8, v134, v8
	v_add_f32_e32 v12, v0, v12
	v_fmac_f32_e32 v14, 0xbe11bafb, v98
	v_mul_f32_e32 v134, 0xbf0a6770, v15
	v_add_f32_e32 v23, v23, v1
	v_add_f32_e32 v12, v14, v12
	v_mov_b32_e32 v14, v134
	v_add_f32_e32 v21, v21, v23
	v_fmac_f32_e32 v14, 0x3f575c64, v100
	v_mul_f32_e32 v135, 0xbe903f40, v16
	v_add_f32_e32 v21, v56, v21
	v_add_f32_e32 v12, v14, v12
	v_mov_b32_e32 v14, v135
	;; [unrolled: 6-line block ×3, first 2 shown]
	v_add_f32_e32 v21, v50, v21
	v_fmac_f32_e32 v14, 0x3ed4b147, v104
	v_add_f32_e32 v21, v52, v21
	v_add_f32_e32 v12, v14, v12
	v_fma_f32 v14, v44, s6, -v117
	v_fma_f32 v16, v44, s5, -v107
	;; [unrolled: 1-line block ×3, first 2 shown]
	v_add_f32_e32 v21, v58, v21
	v_add_f32_e32 v14, v1, v14
	v_fma_f32 v15, v18, s8, -v118
	v_add_f32_e32 v16, v1, v16
	v_fma_f32 v17, v18, s7, -v108
	;; [unrolled: 2-line block ×3, first 2 shown]
	v_add_f32_e32 v20, v20, v21
	v_add_f32_e32 v14, v15, v14
	v_fma_f32 v15, v57, s5, -v119
	v_add_f32_e32 v16, v17, v16
	v_fma_f32 v17, v57, s8, -v109
	;; [unrolled: 2-line block ×3, first 2 shown]
	v_add_f32_e32 v21, v22, v20
	v_add_f32_e32 v20, v0, v81
	;; [unrolled: 1-line block ×3, first 2 shown]
	v_fma_f32 v15, v47, s4, -v120
	v_add_f32_e32 v16, v17, v16
	v_fma_f32 v17, v47, s6, -v110
	v_add_f32_e32 v18, v19, v18
	;; [unrolled: 2-line block ×3, first 2 shown]
	v_add_f32_e32 v14, v15, v14
	v_fma_f32 v15, v49, s7, -v121
	v_fmac_f32_e32 v122, 0xbe11bafb, v51
	v_add_f32_e32 v16, v17, v16
	v_fma_f32 v17, v49, s4, -v111
	v_fmac_f32_e32 v112, 0x3ed4b147, v51
	;; [unrolled: 3-line block ×3, first 2 shown]
	v_add_f32_e32 v20, v54, v20
	v_fma_f32 v22, v51, s7, -v132
	v_add_f32_e32 v15, v15, v14
	v_add_f32_e32 v14, v0, v122
	;; [unrolled: 1-line block ×8, first 2 shown]
	v_fma_f32 v22, v98, s6, -v133
	v_add_f32_e32 v20, v53, v20
	v_add_f32_e32 v0, v22, v0
	v_fma_f32 v22, v100, s4, -v134
	v_fmac_f32_e32 v99, 0x3ed4b147, v98
	v_add_f32_e32 v20, v93, v20
	v_fmac_f32_e32 v127, 0xbf4178ce, v83
	v_add_f32_e32 v0, v22, v0
	v_fma_f32 v22, v102, s8, -v135
	v_fmac_f32_e32 v123, 0xbf75a155, v98
	v_fmac_f32_e32 v113, 0xbf27a4f4, v98
	v_add_f32_e32 v18, v99, v18
	v_fmac_f32_e32 v101, 0xbe11bafb, v100
	v_add_f32_e32 v20, v61, v20
	v_add_f32_e32 v1, v1, v127
	v_fmac_f32_e32 v128, 0x3f7d64f0, v86
	v_add_f32_e32 v0, v22, v0
	v_fma_f32 v22, v104, s5, -v136
	v_add_f32_e32 v14, v123, v14
	v_fmac_f32_e32 v124, 0x3ed4b147, v100
	v_add_f32_e32 v16, v113, v16
	v_fmac_f32_e32 v114, 0xbf75a155, v100
	;; [unrolled: 2-line block ×3, first 2 shown]
	v_add_f32_e32 v20, v55, v20
	v_add_f32_e32 v1, v128, v1
	v_fmac_f32_e32 v129, 0xbf0a6770, v60
	v_add_f32_e32 v0, v22, v0
	v_mul_u32_u24_e32 v22, 0xb0, v95
	v_add_f32_e32 v14, v124, v14
	v_fmac_f32_e32 v125, 0x3f575c64, v102
	v_add_f32_e32 v16, v114, v16
	v_fmac_f32_e32 v115, 0xbe11bafb, v102
	;; [unrolled: 2-line block ×3, first 2 shown]
	v_add_f32_e32 v20, v85, v20
	v_add_f32_e32 v1, v129, v1
	v_fmac_f32_e32 v130, 0xbe903f40, v91
	v_or_b32_e32 v22, v22, v89
	v_add_f32_e32 v14, v125, v14
	v_fmac_f32_e32 v126, 0xbf27a4f4, v104
	v_add_f32_e32 v16, v115, v16
	v_fmac_f32_e32 v116, 0x3f575c64, v104
	v_add_f32_e32 v18, v106, v18
	v_add_f32_e32 v20, v82, v20
	;; [unrolled: 1-line block ×3, first 2 shown]
	v_fmac_f32_e32 v131, 0x3f68dda4, v94
	v_lshlrev_b32_e32 v22, 3, v22
	v_add_f32_e32 v14, v126, v14
	v_add_f32_e32 v16, v116, v16
	;; [unrolled: 1-line block ×3, first 2 shown]
	ds_write2_b64 v22, v[20:21], v[18:19] offset1:16
	ds_write2_b64 v22, v[16:17], v[14:15] offset0:32 offset1:48
	ds_write2_b64 v22, v[12:13], v[10:11] offset0:64 offset1:80
	ds_write2_b64 v22, v[8:9], v[0:1] offset0:96 offset1:112
	ds_write2_b64 v22, v[6:7], v[4:5] offset0:128 offset1:144
	ds_write_b64 v22, v[2:3] offset:1280
.LBB0_37:
	s_or_b64 exec, exec, s[2:3]
	v_add_u32_e32 v20, 0xa00, v87
	s_waitcnt lgkmcnt(0)
	s_barrier
	ds_read2_b64 v[4:7], v20 offset0:32 offset1:208
	v_add_u32_e32 v21, 0x2000, v87
	ds_read2_b64 v[8:11], v21 offset0:32 offset1:208
	v_add_u32_e32 v22, 0x1400, v87
	ds_read2_b64 v[0:3], v87 offset1:176
	ds_read2_b64 v[12:15], v22 offset0:64 offset1:240
	ds_read_b64 v[18:19], v87 offset:11264
	s_waitcnt lgkmcnt(4)
	v_mul_f32_e32 v23, v25, v7
	v_fmac_f32_e32 v23, v24, v6
	v_mul_f32_e32 v6, v25, v6
	v_fma_f32 v44, v24, v7, -v6
	s_waitcnt lgkmcnt(3)
	v_mul_f32_e32 v6, v27, v8
	v_mul_f32_e32 v45, v27, v9
	v_fma_f32 v9, v26, v9, -v6
	s_waitcnt lgkmcnt(1)
	v_mul_f32_e32 v6, v25, v12
	v_mul_f32_e32 v46, v25, v13
	v_fma_f32 v13, v24, v13, -v6
	v_mul_f32_e32 v6, v27, v10
	v_fmac_f32_e32 v45, v26, v8
	v_fmac_f32_e32 v46, v24, v12
	v_mul_f32_e32 v24, v27, v11
	v_fma_f32 v25, v26, v11, -v6
	v_mul_f32_e32 v6, v29, v14
	v_fmac_f32_e32 v24, v26, v10
	v_mul_f32_e32 v26, v29, v15
	v_fma_f32 v27, v28, v15, -v6
	s_waitcnt lgkmcnt(0)
	v_mul_f32_e32 v6, v31, v18
	v_add_f32_e32 v7, v23, v45
	v_fmac_f32_e32 v26, v28, v14
	v_mul_f32_e32 v28, v31, v19
	v_fma_f32 v19, v30, v19, -v6
	v_add_f32_e32 v6, v0, v23
	v_fma_f32 v0, -0.5, v7, v0
	v_sub_f32_e32 v7, v44, v9
	v_mov_b32_e32 v8, v0
	v_fmac_f32_e32 v8, 0xbf5db3d7, v7
	v_fmac_f32_e32 v0, 0x3f5db3d7, v7
	v_add_f32_e32 v7, v1, v44
	v_add_f32_e32 v7, v7, v9
	;; [unrolled: 1-line block ×3, first 2 shown]
	v_fma_f32 v1, -0.5, v9, v1
	v_sub_f32_e32 v10, v23, v45
	v_mov_b32_e32 v9, v1
	v_add_f32_e32 v11, v46, v24
	v_fmac_f32_e32 v9, 0x3f5db3d7, v10
	v_fmac_f32_e32 v1, 0xbf5db3d7, v10
	v_add_f32_e32 v10, v2, v46
	v_fma_f32 v2, -0.5, v11, v2
	v_sub_f32_e32 v11, v13, v25
	v_mov_b32_e32 v12, v2
	v_fmac_f32_e32 v12, 0xbf5db3d7, v11
	v_fmac_f32_e32 v2, 0x3f5db3d7, v11
	v_add_f32_e32 v11, v3, v13
	v_add_f32_e32 v13, v13, v25
	v_fmac_f32_e32 v28, v30, v18
	v_fmac_f32_e32 v3, -0.5, v13
	v_sub_f32_e32 v14, v46, v24
	v_mov_b32_e32 v13, v3
	v_add_f32_e32 v15, v26, v28
	v_fmac_f32_e32 v13, 0x3f5db3d7, v14
	v_fmac_f32_e32 v3, 0xbf5db3d7, v14
	v_add_f32_e32 v14, v4, v26
	v_fma_f32 v4, -0.5, v15, v4
	v_sub_f32_e32 v15, v27, v19
	v_mov_b32_e32 v18, v4
	v_fmac_f32_e32 v18, 0xbf5db3d7, v15
	v_fmac_f32_e32 v4, 0x3f5db3d7, v15
	v_add_f32_e32 v15, v5, v27
	v_add_f32_e32 v15, v15, v19
	;; [unrolled: 1-line block ×3, first 2 shown]
	v_fmac_f32_e32 v5, -0.5, v19
	v_add_f32_e32 v6, v6, v45
	v_sub_f32_e32 v23, v26, v28
	v_mov_b32_e32 v19, v5
	v_add_f32_e32 v10, v10, v24
	v_add_f32_e32 v11, v11, v25
	;; [unrolled: 1-line block ×3, first 2 shown]
	v_fmac_f32_e32 v19, 0x3f5db3d7, v23
	v_fmac_f32_e32 v5, 0xbf5db3d7, v23
	s_barrier
	ds_write2_b64 v87, v[6:7], v[8:9] offset1:176
	ds_write2_b64 v20, v[0:1], v[10:11] offset0:32 offset1:208
	ds_write2_b64 v22, v[12:13], v[2:3] offset0:64 offset1:240
	v_add_u32_e32 v0, 0x2000, v105
	ds_write2_b64 v0, v[14:15], v[18:19] offset0:32 offset1:208
	ds_write_b64 v105, v[4:5] offset:11264
	s_waitcnt lgkmcnt(0)
	s_barrier
	ds_read2_b64 v[0:3], v20 offset0:32 offset1:208
	ds_read2_b64 v[4:7], v87 offset1:176
	ds_read2_b64 v[8:11], v21 offset0:32 offset1:208
	ds_read2_b64 v[12:15], v22 offset0:64 offset1:240
	ds_read_b64 v[18:19], v87 offset:11264
	s_waitcnt lgkmcnt(4)
	v_mul_f32_e32 v20, v37, v3
	v_fmac_f32_e32 v20, v36, v2
	v_mul_f32_e32 v2, v37, v2
	v_fma_f32 v21, v36, v3, -v2
	s_waitcnt lgkmcnt(2)
	v_mul_f32_e32 v2, v39, v8
	v_mul_f32_e32 v23, v39, v9
	v_fma_f32 v9, v38, v9, -v2
	s_waitcnt lgkmcnt(1)
	v_mul_f32_e32 v2, v33, v12
	v_mul_f32_e32 v24, v33, v13
	v_fma_f32 v13, v32, v13, -v2
	v_mul_f32_e32 v2, v35, v10
	v_fmac_f32_e32 v23, v38, v8
	v_fma_f32 v26, v34, v11, -v2
	v_mul_f32_e32 v2, v41, v14
	v_fma_f32 v28, v40, v15, -v2
	s_waitcnt lgkmcnt(0)
	v_mul_f32_e32 v2, v43, v18
	v_add_f32_e32 v3, v20, v23
	v_mul_f32_e32 v29, v43, v19
	v_fma_f32 v19, v42, v19, -v2
	v_add_f32_e32 v2, v4, v20
	v_fma_f32 v4, -0.5, v3, v4
	v_sub_f32_e32 v3, v21, v9
	v_mov_b32_e32 v8, v4
	v_fmac_f32_e32 v8, 0xbf5db3d7, v3
	v_fmac_f32_e32 v4, 0x3f5db3d7, v3
	v_add_f32_e32 v3, v5, v21
	v_mul_f32_e32 v25, v35, v11
	v_add_f32_e32 v3, v3, v9
	v_add_f32_e32 v9, v21, v9
	v_fmac_f32_e32 v24, v32, v12
	v_fmac_f32_e32 v25, v34, v10
	v_fma_f32 v5, -0.5, v9, v5
	v_sub_f32_e32 v10, v20, v23
	v_mov_b32_e32 v9, v5
	v_add_f32_e32 v11, v24, v25
	v_fmac_f32_e32 v9, 0x3f5db3d7, v10
	v_fmac_f32_e32 v5, 0xbf5db3d7, v10
	v_add_f32_e32 v10, v6, v24
	v_fma_f32 v6, -0.5, v11, v6
	v_sub_f32_e32 v11, v13, v26
	v_mov_b32_e32 v12, v6
	v_mul_f32_e32 v27, v41, v15
	v_fmac_f32_e32 v12, 0xbf5db3d7, v11
	v_fmac_f32_e32 v6, 0x3f5db3d7, v11
	v_add_f32_e32 v11, v7, v13
	v_add_f32_e32 v13, v13, v26
	v_fmac_f32_e32 v27, v40, v14
	v_fmac_f32_e32 v29, v42, v18
	v_fmac_f32_e32 v7, -0.5, v13
	v_sub_f32_e32 v14, v24, v25
	v_mov_b32_e32 v13, v7
	v_add_f32_e32 v15, v27, v29
	v_fmac_f32_e32 v13, 0x3f5db3d7, v14
	v_fmac_f32_e32 v7, 0xbf5db3d7, v14
	v_add_f32_e32 v14, v0, v27
	v_fma_f32 v0, -0.5, v15, v0
	v_sub_f32_e32 v15, v28, v19
	v_mov_b32_e32 v18, v0
	v_fmac_f32_e32 v18, 0xbf5db3d7, v15
	v_fmac_f32_e32 v0, 0x3f5db3d7, v15
	v_add_f32_e32 v15, v1, v28
	v_add_f32_e32 v15, v15, v19
	;; [unrolled: 1-line block ×3, first 2 shown]
	v_fmac_f32_e32 v1, -0.5, v19
	v_sub_f32_e32 v20, v27, v29
	v_add_f32_e32 v2, v2, v23
	v_mov_b32_e32 v19, v1
	v_fmac_f32_e32 v1, 0xbf5db3d7, v20
	v_add_f32_e32 v10, v10, v25
	v_add_f32_e32 v11, v11, v26
	;; [unrolled: 1-line block ×3, first 2 shown]
	v_fmac_f32_e32 v19, 0x3f5db3d7, v20
	ds_write_b64 v87, v[8:9] offset:4224
	ds_write_b64 v87, v[4:5] offset:8448
	ds_write2_b64 v87, v[2:3], v[10:11] offset1:176
	ds_write_b64 v87, v[6:7] offset:9856
	ds_write_b64 v87, v[14:15] offset:2816
	ds_write2_b64 v22, v[12:13], v[18:19] offset0:64 offset1:240
	ds_write_b64 v87, v[0:1] offset:11264
	s_waitcnt lgkmcnt(0)
	s_barrier
	ds_read2_b64 v[0:3], v87 offset1:176
	v_mad_u64_u32 v[16:17], s[2:3], s14, v70, 0
	v_mov_b32_e32 v14, s11
	s_mul_hi_u32 s7, s12, 0xfffffc0c
	s_waitcnt lgkmcnt(0)
	v_mul_f32_e32 v5, v80, v1
	v_fmac_f32_e32 v5, v79, v0
	v_cvt_f64_f32_e32 v[5:6], v5
	v_mov_b32_e32 v4, v17
	v_mul_f32_e32 v0, v80, v0
	v_fma_f32 v0, v79, v1, -v0
	v_mad_u64_u32 v[7:8], s[2:3], s15, v70, v[4:5]
	s_mov_b32 s2, 0xa052bf5b
	s_mov_b32 s3, 0x3f44afd6
	v_mul_f64 v[4:5], v[5:6], s[2:3]
	v_mad_u64_u32 v[8:9], s[4:5], s12, v88, 0
	v_cvt_f64_f32_e32 v[0:1], v0
	v_mov_b32_e32 v17, v7
	s_mul_i32 s6, s13, 0xfffffc0c
	s_sub_i32 s7, s7, s12
	v_mul_f64 v[0:1], v[0:1], s[2:3]
	v_cvt_f32_f64_e32 v10, v[4:5]
	v_mov_b32_e32 v4, v9
	v_mad_u64_u32 v[12:13], s[4:5], s13, v88, v[4:5]
	v_add_u32_e32 v4, 0xc00, v87
	ds_read2_b64 v[4:7], v4 offset0:12 offset1:188
	v_mov_b32_e32 v9, v12
	v_cvt_f32_f64_e32 v11, v[0:1]
	v_lshlrev_b64 v[0:1], 3, v[16:17]
	v_lshlrev_b64 v[8:9], 3, v[8:9]
	s_waitcnt lgkmcnt(0)
	v_mul_f32_e32 v12, v78, v5
	v_fmac_f32_e32 v12, v77, v4
	v_mul_f32_e32 v4, v78, v4
	v_fma_f32 v4, v77, v5, -v4
	v_cvt_f64_f32_e32 v[12:13], v12
	v_cvt_f64_f32_e32 v[4:5], v4
	v_add_co_u32_e32 v15, vcc, s10, v0
	v_addc_co_u32_e32 v14, vcc, v14, v1, vcc
	v_mul_f64 v[0:1], v[12:13], s[2:3]
	v_mul_f64 v[4:5], v[4:5], s[2:3]
	v_add_co_u32_e32 v16, vcc, v15, v8
	v_addc_co_u32_e32 v17, vcc, v14, v9, vcc
	global_store_dwordx2 v[16:17], v[10:11], off
	v_add_u32_e32 v12, 0x2400, v87
	v_cvt_f32_f64_e32 v0, v[0:1]
	v_cvt_f32_f64_e32 v1, v[4:5]
	v_add_u32_e32 v4, 0x1800, v87
	ds_read2_b64 v[8:11], v4 offset0:24 offset1:200
	s_mul_i32 s4, s13, 0x18c
	s_mul_hi_u32 s5, s12, 0x18c
	ds_read2_b64 v[12:15], v12 offset0:36 offset1:212
	s_add_i32 s5, s5, s4
	s_waitcnt lgkmcnt(1)
	v_mul_f32_e32 v4, v76, v9
	v_fmac_f32_e32 v4, v75, v8
	v_mul_f32_e32 v8, v76, v8
	v_fma_f32 v8, v75, v9, -v8
	v_cvt_f64_f32_e32 v[4:5], v4
	v_cvt_f64_f32_e32 v[8:9], v8
	s_mul_i32 s4, s12, 0x18c
	s_lshl_b64 s[4:5], s[4:5], 3
	v_mul_f64 v[4:5], v[4:5], s[2:3]
	v_mul_f64 v[8:9], v[8:9], s[2:3]
	v_mov_b32_e32 v18, s5
	v_add_co_u32_e32 v16, vcc, s4, v16
	v_addc_co_u32_e32 v17, vcc, v17, v18, vcc
	global_store_dwordx2 v[16:17], v[0:1], off
	v_cvt_f32_f64_e32 v0, v[4:5]
	v_cvt_f32_f64_e32 v1, v[8:9]
	s_waitcnt lgkmcnt(0)
	v_mul_f32_e32 v4, v72, v13
	v_mul_f32_e32 v8, v72, v12
	v_fmac_f32_e32 v4, v71, v12
	v_fma_f32 v8, v71, v13, -v8
	v_cvt_f64_f32_e32 v[4:5], v4
	v_cvt_f64_f32_e32 v[8:9], v8
	v_add_co_u32_e32 v12, vcc, s4, v16
	v_mul_f32_e32 v16, v74, v3
	v_fmac_f32_e32 v16, v73, v2
	v_mul_f32_e32 v2, v74, v2
	v_fma_f32 v2, v73, v3, -v2
	v_mul_f64 v[4:5], v[4:5], s[2:3]
	v_mul_f64 v[8:9], v[8:9], s[2:3]
	v_cvt_f64_f32_e32 v[2:3], v2
	v_addc_co_u32_e32 v13, vcc, v17, v18, vcc
	v_cvt_f64_f32_e32 v[16:17], v16
	v_mul_f64 v[2:3], v[2:3], s[2:3]
	global_store_dwordx2 v[12:13], v[0:1], off
	v_cvt_f32_f64_e32 v0, v[4:5]
	v_cvt_f32_f64_e32 v1, v[8:9]
	v_mul_f64 v[4:5], v[16:17], s[2:3]
	v_add_co_u32_e32 v8, vcc, s4, v12
	v_addc_co_u32_e32 v9, vcc, v13, v18, vcc
	global_store_dwordx2 v[8:9], v[0:1], off
	v_cvt_f32_f64_e32 v1, v[2:3]
	v_mul_f32_e32 v2, v69, v7
	v_fmac_f32_e32 v2, v68, v6
	v_cvt_f64_f32_e32 v[2:3], v2
	v_cvt_f32_f64_e32 v0, v[4:5]
	v_mul_f32_e32 v4, v69, v6
	v_fma_f32 v4, v68, v7, -v4
	v_mul_f64 v[2:3], v[2:3], s[2:3]
	v_cvt_f64_f32_e32 v[4:5], v4
	s_add_i32 s7, s7, s6
	s_mul_i32 s6, s12, 0xfffffc0c
	s_lshl_b64 s[6:7], s[6:7], 3
	v_mul_f64 v[4:5], v[4:5], s[2:3]
	v_mov_b32_e32 v7, s7
	v_add_co_u32_e32 v6, vcc, s6, v8
	v_addc_co_u32_e32 v7, vcc, v9, v7, vcc
	global_store_dwordx2 v[6:7], v[0:1], off
	v_cvt_f32_f64_e32 v0, v[2:3]
	v_mul_f32_e32 v2, v67, v11
	v_fmac_f32_e32 v2, v66, v10
	v_cvt_f64_f32_e32 v[2:3], v2
	v_cvt_f32_f64_e32 v1, v[4:5]
	v_mul_f32_e32 v4, v67, v10
	v_fma_f32 v4, v66, v11, -v4
	v_mul_f64 v[2:3], v[2:3], s[2:3]
	v_cvt_f64_f32_e32 v[4:5], v4
	v_mul_f32_e32 v8, v65, v15
	v_mul_f32_e32 v10, v65, v14
	v_fmac_f32_e32 v8, v64, v14
	v_fma_f32 v10, v64, v15, -v10
	v_cvt_f64_f32_e32 v[8:9], v8
	v_cvt_f64_f32_e32 v[10:11], v10
	v_add_co_u32_e32 v6, vcc, s4, v6
	v_mul_f64 v[4:5], v[4:5], s[2:3]
	v_addc_co_u32_e32 v7, vcc, v7, v18, vcc
	global_store_dwordx2 v[6:7], v[0:1], off
	v_cvt_f32_f64_e32 v0, v[2:3]
	v_mul_f64 v[2:3], v[8:9], s[2:3]
	v_mul_f64 v[8:9], v[10:11], s[2:3]
	s_movk_i32 s8, 0x2000
	v_cvt_f32_f64_e32 v1, v[4:5]
	v_add_co_u32_e32 v4, vcc, s4, v6
	v_addc_co_u32_e32 v5, vcc, v7, v18, vcc
	v_cvt_f32_f64_e32 v2, v[2:3]
	v_cvt_f32_f64_e32 v3, v[8:9]
	global_store_dwordx2 v[4:5], v[0:1], off
	v_add_co_u32_e32 v0, vcc, s4, v4
	v_addc_co_u32_e32 v1, vcc, v5, v18, vcc
	global_store_dwordx2 v[0:1], v[2:3], off
	s_and_b64 exec, exec, s[0:1]
	s_cbranch_execz .LBB0_39
; %bb.38:
	s_movk_i32 s0, 0x1000
	v_add_co_u32_e32 v4, vcc, s0, v62
	v_addc_co_u32_e32 v5, vcc, 0, v63, vcc
	v_add_co_u32_e32 v6, vcc, s8, v62
	global_load_dwordx2 v[2:3], v[62:63], off offset:2816
	v_addc_co_u32_e32 v7, vcc, 0, v63, vcc
	s_movk_i32 s0, 0x3000
	global_load_dwordx2 v[8:9], v[4:5], off offset:1888
	global_load_dwordx2 v[10:11], v[6:7], off offset:960
	v_add_co_u32_e32 v4, vcc, s0, v62
	v_addc_co_u32_e32 v5, vcc, 0, v63, vcc
	global_load_dwordx2 v[4:5], v[4:5], off offset:32
	ds_read_b64 v[6:7], v87 offset:2816
	ds_read_b64 v[12:13], v87 offset:5984
	;; [unrolled: 1-line block ×4, first 2 shown]
	v_mov_b32_e32 v18, s7
	v_add_co_u32_e32 v0, vcc, s6, v0
	v_addc_co_u32_e32 v1, vcc, v1, v18, vcc
	v_mov_b32_e32 v23, s5
	v_add_co_u32_e32 v18, vcc, s4, v0
	v_addc_co_u32_e32 v19, vcc, v1, v23, vcc
	v_add_co_u32_e32 v20, vcc, s4, v18
	v_addc_co_u32_e32 v21, vcc, v19, v23, vcc
	;; [unrolled: 2-line block ×3, first 2 shown]
	s_waitcnt vmcnt(3) lgkmcnt(3)
	v_mul_f32_e32 v24, v7, v3
	v_mul_f32_e32 v3, v6, v3
	v_fmac_f32_e32 v24, v6, v2
	v_fma_f32 v6, v2, v7, -v3
	v_cvt_f64_f32_e32 v[2:3], v24
	s_waitcnt vmcnt(2) lgkmcnt(2)
	v_mul_f32_e32 v24, v13, v9
	v_mul_f32_e32 v9, v12, v9
	v_cvt_f64_f32_e32 v[6:7], v6
	s_waitcnt vmcnt(1) lgkmcnt(1)
	v_mul_f32_e32 v25, v15, v11
	v_mul_f32_e32 v11, v14, v11
	s_waitcnt vmcnt(0) lgkmcnt(0)
	v_mul_f32_e32 v26, v17, v5
	v_mul_f32_e32 v5, v16, v5
	v_fmac_f32_e32 v24, v12, v8
	v_fma_f32 v8, v8, v13, -v9
	v_fmac_f32_e32 v25, v14, v10
	v_fma_f32 v12, v10, v15, -v11
	;; [unrolled: 2-line block ×3, first 2 shown]
	v_cvt_f64_f32_e32 v[4:5], v24
	v_cvt_f64_f32_e32 v[8:9], v8
	;; [unrolled: 1-line block ×6, first 2 shown]
	v_mul_f64 v[2:3], v[2:3], s[2:3]
	v_mul_f64 v[6:7], v[6:7], s[2:3]
	;; [unrolled: 1-line block ×8, first 2 shown]
	v_cvt_f32_f64_e32 v2, v[2:3]
	v_cvt_f32_f64_e32 v3, v[6:7]
	v_cvt_f32_f64_e32 v4, v[4:5]
	v_cvt_f32_f64_e32 v5, v[8:9]
	v_cvt_f32_f64_e32 v6, v[10:11]
	v_cvt_f32_f64_e32 v7, v[12:13]
	v_cvt_f32_f64_e32 v8, v[14:15]
	v_cvt_f32_f64_e32 v9, v[16:17]
	global_store_dwordx2 v[0:1], v[2:3], off
	global_store_dwordx2 v[18:19], v[4:5], off
	;; [unrolled: 1-line block ×4, first 2 shown]
.LBB0_39:
	s_endpgm
	.section	.rodata,"a",@progbits
	.p2align	6, 0x0
	.amdhsa_kernel bluestein_single_fwd_len1584_dim1_sp_op_CI_CI
		.amdhsa_group_segment_fixed_size 12672
		.amdhsa_private_segment_fixed_size 0
		.amdhsa_kernarg_size 104
		.amdhsa_user_sgpr_count 6
		.amdhsa_user_sgpr_private_segment_buffer 1
		.amdhsa_user_sgpr_dispatch_ptr 0
		.amdhsa_user_sgpr_queue_ptr 0
		.amdhsa_user_sgpr_kernarg_segment_ptr 1
		.amdhsa_user_sgpr_dispatch_id 0
		.amdhsa_user_sgpr_flat_scratch_init 0
		.amdhsa_user_sgpr_private_segment_size 0
		.amdhsa_uses_dynamic_stack 0
		.amdhsa_system_sgpr_private_segment_wavefront_offset 0
		.amdhsa_system_sgpr_workgroup_id_x 1
		.amdhsa_system_sgpr_workgroup_id_y 0
		.amdhsa_system_sgpr_workgroup_id_z 0
		.amdhsa_system_sgpr_workgroup_info 0
		.amdhsa_system_vgpr_workitem_id 0
		.amdhsa_next_free_vgpr 177
		.amdhsa_next_free_sgpr 24
		.amdhsa_reserve_vcc 1
		.amdhsa_reserve_flat_scratch 0
		.amdhsa_float_round_mode_32 0
		.amdhsa_float_round_mode_16_64 0
		.amdhsa_float_denorm_mode_32 3
		.amdhsa_float_denorm_mode_16_64 3
		.amdhsa_dx10_clamp 1
		.amdhsa_ieee_mode 1
		.amdhsa_fp16_overflow 0
		.amdhsa_exception_fp_ieee_invalid_op 0
		.amdhsa_exception_fp_denorm_src 0
		.amdhsa_exception_fp_ieee_div_zero 0
		.amdhsa_exception_fp_ieee_overflow 0
		.amdhsa_exception_fp_ieee_underflow 0
		.amdhsa_exception_fp_ieee_inexact 0
		.amdhsa_exception_int_div_zero 0
	.end_amdhsa_kernel
	.text
.Lfunc_end0:
	.size	bluestein_single_fwd_len1584_dim1_sp_op_CI_CI, .Lfunc_end0-bluestein_single_fwd_len1584_dim1_sp_op_CI_CI
                                        ; -- End function
	.section	.AMDGPU.csdata,"",@progbits
; Kernel info:
; codeLenInByte = 12540
; NumSgprs: 28
; NumVgprs: 177
; ScratchSize: 0
; MemoryBound: 0
; FloatMode: 240
; IeeeMode: 1
; LDSByteSize: 12672 bytes/workgroup (compile time only)
; SGPRBlocks: 3
; VGPRBlocks: 44
; NumSGPRsForWavesPerEU: 28
; NumVGPRsForWavesPerEU: 177
; Occupancy: 1
; WaveLimiterHint : 1
; COMPUTE_PGM_RSRC2:SCRATCH_EN: 0
; COMPUTE_PGM_RSRC2:USER_SGPR: 6
; COMPUTE_PGM_RSRC2:TRAP_HANDLER: 0
; COMPUTE_PGM_RSRC2:TGID_X_EN: 1
; COMPUTE_PGM_RSRC2:TGID_Y_EN: 0
; COMPUTE_PGM_RSRC2:TGID_Z_EN: 0
; COMPUTE_PGM_RSRC2:TIDIG_COMP_CNT: 0
	.type	__hip_cuid_c27e028be767c341,@object ; @__hip_cuid_c27e028be767c341
	.section	.bss,"aw",@nobits
	.globl	__hip_cuid_c27e028be767c341
__hip_cuid_c27e028be767c341:
	.byte	0                               ; 0x0
	.size	__hip_cuid_c27e028be767c341, 1

	.ident	"AMD clang version 19.0.0git (https://github.com/RadeonOpenCompute/llvm-project roc-6.4.0 25133 c7fe45cf4b819c5991fe208aaa96edf142730f1d)"
	.section	".note.GNU-stack","",@progbits
	.addrsig
	.addrsig_sym __hip_cuid_c27e028be767c341
	.amdgpu_metadata
---
amdhsa.kernels:
  - .args:
      - .actual_access:  read_only
        .address_space:  global
        .offset:         0
        .size:           8
        .value_kind:     global_buffer
      - .actual_access:  read_only
        .address_space:  global
        .offset:         8
        .size:           8
        .value_kind:     global_buffer
      - .actual_access:  read_only
        .address_space:  global
        .offset:         16
        .size:           8
        .value_kind:     global_buffer
      - .actual_access:  read_only
        .address_space:  global
        .offset:         24
        .size:           8
        .value_kind:     global_buffer
      - .actual_access:  read_only
        .address_space:  global
        .offset:         32
        .size:           8
        .value_kind:     global_buffer
      - .offset:         40
        .size:           8
        .value_kind:     by_value
      - .address_space:  global
        .offset:         48
        .size:           8
        .value_kind:     global_buffer
      - .address_space:  global
        .offset:         56
        .size:           8
        .value_kind:     global_buffer
      - .address_space:  global
        .offset:         64
        .size:           8
        .value_kind:     global_buffer
      - .address_space:  global
        .offset:         72
        .size:           8
        .value_kind:     global_buffer
      - .offset:         80
        .size:           4
        .value_kind:     by_value
      - .address_space:  global
        .offset:         88
        .size:           8
        .value_kind:     global_buffer
      - .address_space:  global
        .offset:         96
        .size:           8
        .value_kind:     global_buffer
    .group_segment_fixed_size: 12672
    .kernarg_segment_align: 8
    .kernarg_segment_size: 104
    .language:       OpenCL C
    .language_version:
      - 2
      - 0
    .max_flat_workgroup_size: 176
    .name:           bluestein_single_fwd_len1584_dim1_sp_op_CI_CI
    .private_segment_fixed_size: 0
    .sgpr_count:     28
    .sgpr_spill_count: 0
    .symbol:         bluestein_single_fwd_len1584_dim1_sp_op_CI_CI.kd
    .uniform_work_group_size: 1
    .uses_dynamic_stack: false
    .vgpr_count:     177
    .vgpr_spill_count: 0
    .wavefront_size: 64
amdhsa.target:   amdgcn-amd-amdhsa--gfx906
amdhsa.version:
  - 1
  - 2
...

	.end_amdgpu_metadata
